;; amdgpu-corpus repo=ROCm/aiter kind=harvested arch=n/a opt=n/a

/root/src/amdgpu-assembly/repos/ROCm__aiter/hsa/gfx942/fmha_v3_fwd/MI300/fwd_hd128_bf16_causal_rtna.co:	file format elf64-amdgpu

Disassembly of section .text:

0000000000003300 <_ZN5aiter31fmha_fwd_hd128_bf16_causal_rtnaE>:
	s_and_b32 s1, s1, 0xffff                                   // 000000003300: 8601FF01 0000FFFF
	s_load_dwordx2 s[20:21], s[0:1], 0x0                       // 000000003308: C0060500 00000000
	s_load_dwordx2 s[8:9], s[0:1], 0x10                        // 000000003310: C0060200 00000010
	s_load_dwordx2 s[12:13], s[0:1], 0x20                      // 000000003318: C0060300 00000020
	s_load_dwordx2 s[16:17], s[0:1], 0x30                      // 000000003320: C0060400 00000030
	s_load_dwordx2 s[24:25], s[0:1], 0x40                      // 000000003328: C0060600 00000040
	s_load_dword s28, s[0:1], 0x50                             // 000000003330: C0020700 00000050
	s_load_dword s30, s[0:1], 0x60                             // 000000003338: C0020780 00000060
	s_load_dword s62, s[0:1], 0x70                             // 000000003340: C0020F80 00000070
	s_load_dword s31, s[0:1], 0x80                             // 000000003348: C00207C0 00000080
	s_load_dword s32, s[0:1], 0x90                             // 000000003350: C0020800 00000090
	s_load_dword s33, s[0:1], 0xa0                             // 000000003358: C0020840 000000A0
	s_load_dword s46, s[0:1], 0xb0                             // 000000003360: C0020B80 000000B0
	s_load_dword s61, s[0:1], 0xc0                             // 000000003368: C0020F40 000000C0
	s_load_dword s47, s[0:1], 0xd0                             // 000000003370: C0020BC0 000000D0
	s_load_dword s48, s[0:1], 0xe0                             // 000000003378: C0020C00 000000E0
	s_load_dword s34, s[0:1], 0xf0                             // 000000003380: C0020880 000000F0
	s_load_dword s37, s[0:1], 0x100                            // 000000003388: C0020940 00000100
	s_load_dword s7, s[0:1], 0x110                             // 000000003390: C00201C0 00000110
	s_load_dword s96, s[0:1], 0x140                            // 000000003398: C0021800 00000140
	s_load_dword s80, s[0:1], 0x150                            // 0000000033A0: C0021400 00000150
	s_load_dword s81, s[0:1], 0x160                            // 0000000033A8: C0021440 00000160
	s_load_dword s82, s[0:1], 0x170                            // 0000000033B0: C0021480 00000170
	s_load_dword s83, s[0:1], 0x180                            // 0000000033B8: C00214C0 00000180
	s_load_dword s84, s[0:1], 0x190                            // 0000000033C0: C0021500 00000190
	s_load_dword s85, s[0:1], 0x1a0                            // 0000000033C8: C0021540 000001A0
	s_load_dwordx2 s[76:77], s[0:1], 0x1b0                     // 0000000033D0: C0061300 000001B0
	s_load_dwordx2 s[78:79], s[0:1], 0x1c0                     // 0000000033D8: C0061380 000001C0
	s_load_dword s86, s[0:1], 0x1d0                            // 0000000033E0: C0021580 000001D0
	s_load_dwordx2 s[88:89], s[0:1], 0x1e0                     // 0000000033E8: C0061600 000001E0
	s_load_dwordx2 s[90:91], s[0:1], 0x1f0                     // 0000000033F0: C0061680 000001F0
	v_lshrrev_b32_e32 v1, 10, v0                               // 0000000033F8: 2002008A
	v_lshrrev_b32_e32 v2, 10, v1                               // 0000000033FC: 2004028A
	v_and_b32_e32 v2, 0x3ff, v2                                // 000000003400: 260404FF 000003FF
	v_and_b32_e32 v1, 0x3ff, v1                                // 000000003408: 260202FF 000003FF
	v_and_b32_e32 v0, 0x3ff, v0                                // 000000003410: 260000FF 000003FF
	v_lshrrev_b32_e32 v3, 6, v0                                // 000000003418: 20060086
	v_and_b32_e32 v0, 63, v0                                   // 00000000341C: 260000BF
	s_mov_b32 s2, s2                                           // 000000003420: BE820002
	s_mov_b32 s3, s3                                           // 000000003424: BE830003
	s_mov_b32 s4, s4                                           // 000000003428: BE840004
	v_readfirstlane_b32 s5, v3                                 // 00000000342C: 7E0A0503
	s_waitcnt lgkmcnt(0)                                       // 000000003430: BF8CC07F
	s_nop 0                                                    // 000000003434: BF800000
	s_lshr_b32 s40, s34, 1                                     // 000000003438: 8F288122
	s_and_b32 s40, 3, s40                                      // 00000000343C: 86282883
	s_cmp_lt_u32 s40, 1                                        // 000000003440: BF0A8128
	s_cbranch_scc1 label_006E                                  // 000000003444: BF85001C
	s_add_u32 s41, s30, 0xff                                   // 000000003448: 8029FF1E 000000FF
	s_lshr_b32 s41, s41, 8                                     // 000000003450: 8F298829
	s_add_u32 s41, s41, 1                                      // 000000003454: 80298129
	s_lshr_b32 s6, s41, 1                                      // 000000003458: 8F068129
	s_cmp_eq_u32 s40, 2                                        // 00000000345C: BF068228
	s_cbranch_scc1 label_0061                                  // 000000003460: BF850008
	s_lshr_b32 s41, s6, 3                                      // 000000003464: 8F298306
	s_lshr_b32 s42, s2, 3                                      // 000000003468: 8F2A8302
	s_and_b32 s40, s2, 7                                       // 00000000346C: 86288702
	s_mul_i32 s40, s40, s41                                    // 000000003470: 92282928
	s_add_u32 s40, s42, s40                                    // 000000003474: 8028282A
	s_cmp_lt_i32 s42, s41                                      // 000000003478: BF04292A
	s_cselect_b32 s2, s40, s2                                  // 00000000347C: 85020228
	s_branch label_006E                                        // 000000003480: BF82000D

0000000000003484 <label_0061>:
	s_and_b32 s40, s3, 7                                       // 000000003484: 86288703
	s_mul_i32 s40, s40, s6                                     // 000000003488: 92280628
	s_add_u32 s40, s40, s2                                     // 00000000348C: 80280228
	s_and_b32 s41, s40, 7                                      // 000000003490: 86298728
	s_lshr_b32 s2, s40, 3                                      // 000000003494: 8F028328
	s_and_b32 s3, s3, -8                                       // 000000003498: 8603C803
	s_add_u32 s3, s3, s41                                      // 00000000349C: 80032903
	s_nop 0                                                    // 0000000034A0: BF800000
	s_nop 0                                                    // 0000000034A4: BF800000
	s_nop 0                                                    // 0000000034A8: BF800000
	s_nop 0                                                    // 0000000034AC: BF800000
	s_nop 0                                                    // 0000000034B0: BF800000
	s_nop 0                                                    // 0000000034B4: BF800000

00000000000034b8 <label_006E>:
	s_mul_i32 s40, s30, s62                                    // 0000000034B8: 92283E1E
	s_mov_b32 s10, s40                                         // 0000000034BC: BE8A0028
	s_mul_i32 s40, s30, s83                                    // 0000000034C0: 9228531E
	s_mov_b32 s22, s40                                         // 0000000034C4: BE960028
	s_mul_i32 s40, s7, s61                                     // 0000000034C8: 92283D07
	s_mov_b32 s14, s40                                         // 0000000034CC: BE8E0028
	s_mul_i32 s40, s7, s80                                     // 0000000034D0: 92285007
	s_mov_b32 s18, s40                                         // 0000000034D4: BE920028
	s_mul_i32 s40, s30, 4                                      // 0000000034D8: 9228841E
	s_mov_b32 s26, s40                                         // 0000000034DC: BE9A0028
	s_mov_b32 s23, 0x20000                                     // 0000000034E0: BE9700FF 00020000
	s_mov_b32 s11, 0x20000                                     // 0000000034E8: BE8B00FF 00020000
	s_mov_b32 s15, 0x20000                                     // 0000000034F0: BE8F00FF 00020000
	s_mov_b32 s19, 0x20000                                     // 0000000034F8: BE9300FF 00020000
	s_mov_b32 s27, 0x20000                                     // 000000003500: BE9B00FF 00020000
	s_and_b32 s21, s21, 0xffff                                 // 000000003508: 8615FF15 0000FFFF
	s_and_b32 s9, s9, 0xffff                                   // 000000003510: 8609FF09 0000FFFF
	s_and_b32 s13, s13, 0xffff                                 // 000000003518: 860DFF0D 0000FFFF
	s_and_b32 s17, s17, 0xffff                                 // 000000003520: 8611FF11 0000FFFF
	s_and_b32 s25, s25, 0xffff                                 // 000000003528: 8619FF19 0000FFFF
	s_nop 0                                                    // 000000003530: BF800000
	s_nop 0                                                    // 000000003534: BF800000
	s_mov_b32 s64, s3                                          // 000000003538: BEC00003
	s_mov_b32 s65, s46                                         // 00000000353C: BEC1002E
	v_cvt_f32_u32_e32 v16, s65                                 // 000000003540: 7E200C41
	s_sub_i32 s40, 0, s65                                      // 000000003544: 81A84180
	v_rcp_iflag_f32_e32 v16, v16                               // 000000003548: 7E204710
	s_nop 0                                                    // 00000000354C: BF800000
	v_mul_f32_e32 v16, 0x4f7ffffe, v16                         // 000000003550: 0A2020FF 4F7FFFFE
	v_cvt_u32_f32_e32 v16, v16                                 // 000000003558: 7E200F10
	v_mul_lo_u32 v17, s40, v16                                 // 00000000355C: D2850011 00022028
	v_mul_hi_u32 v17, v16, v17                                 // 000000003564: D2860011 00022310
	v_add_u32_e32 v16, v16, v17                                // 00000000356C: 68202310
	v_mul_hi_u32 v16, s64, v16                                 // 000000003570: D2860010 00022040
	v_mul_lo_u32 v17, v16, s65                                 // 000000003578: D2850011 00008310
	v_sub_u32_e32 v19, s64, v17                                // 000000003580: 6A262240
	v_add_u32_e32 v18, 1, v16                                  // 000000003584: 68242081
	v_cmp_le_u32_e32 vcc, s65, v19                             // 000000003588: 7D962641
	v_subrev_u32_e32 v17, s65, v19                             // 00000000358C: 6C222641
	s_nop 0                                                    // 000000003590: BF800000
	v_cndmask_b32_e32 v16, v16, v18, vcc                       // 000000003594: 00202510
	v_cndmask_b32_e32 v19, v19, v17, vcc                       // 000000003598: 00262313
	v_add_u32_e32 v17, 1, v16                                  // 00000000359C: 68222081
	v_cmp_le_u32_e32 vcc, s65, v19                             // 0000000035A0: 7D962641
	s_nop 1                                                    // 0000000035A4: BF800001
	v_cndmask_b32_e32 v19, v16, v17, vcc                       // 0000000035A8: 00262310
	s_nop 3                                                    // 0000000035AC: BF800003
	v_readfirstlane_b32 s66, v19                               // 0000000035B0: 7E840513
	s_nop 3                                                    // 0000000035B4: BF800003
	s_mov_b32 s49, 0x7060302                                   // 0000000035B8: BEB100FF 07060302
	s_mov_b32 s50, 0x5040100                                   // 0000000035C0: BEB200FF 05040100
	v_mov_b32_e32 v41, 0xffff0000                              // 0000000035C8: 7E5202FF FFFF0000
	v_mov_b32_e32 v42, 0x7fff0000                              // 0000000035D0: 7E5402FF 7FFF0000
	v_mov_b32_e32 v43, 0x7fff                                  // 0000000035D8: 7E5602FF 00007FFF
	v_lshrrev_b32_e32 v16, 5, v0                               // 0000000035E0: 20200085
	v_sub_u32_e32 v16, 1, v16                                  // 0000000035E4: 6A202081
	v_mul_i32_i24_e32 v32, 0x80, v16                           // 0000000035E8: 0C4020FF 00000080
	v_and_b32_e32 v16, 31, v0                                  // 0000000035F0: 2620009F
	v_mul_i32_i24_e32 v16, 4, v16                              // 0000000035F4: 0C202084
	v_add_u32_e32 v32, v16, v32                                // 0000000035F8: 68404110
	s_mov_b32 s60, 0                                           // 0000000035FC: BEBC0080
	s_mov_b32 s35, 0                                           // 000000003600: BEA30080
	s_mul_i32 s43, 32, s61                                     // 000000003604: 922B3DA0
	s_mul_i32 s44, 32, s80                                     // 000000003608: 922C50A0
	s_mul_i32 s40, s4, s33                                     // 00000000360C: 92282104
	s_mul_hi_u32 s42, s4, s33                                  // 000000003610: 962A2104
	s_and_b32 s42, s42, 0xffff                                 // 000000003614: 862AFF2A 0000FFFF
	s_mul_i32 s41, s3, s32                                     // 00000000361C: 92292003
	s_add_u32 s40, s40, s41                                    // 000000003620: 80282928
	s_add_u32 s8, s40, s8                                      // 000000003624: 80080828
	s_addc_u32 s9, s42, s9                                     // 000000003628: 8209092A
	s_mul_i32 s40, s4, s85                                     // 00000000362C: 92285504
	s_mul_hi_u32 s42, s4, s85                                  // 000000003630: 962A5504
	s_and_b32 s42, s42, 0xffff                                 // 000000003634: 862AFF2A 0000FFFF
	s_mul_i32 s41, s3, s84                                     // 00000000363C: 92295403
	s_add_u32 s40, s40, s41                                    // 000000003640: 80282928
	s_add_u32 s20, s40, s20                                    // 000000003644: 80141428
	s_addc_u32 s21, s42, s21                                   // 000000003648: 8215152A
	s_mul_i32 s40, s96, s86                                    // 00000000364C: 92285660
	s_mul_i32 s40, s4, s40                                     // 000000003650: 92282804
	s_mul_i32 s41, s3, s86                                     // 000000003654: 92295603
	s_nop 0                                                    // 000000003658: BF800000
	s_add_i32 s40, s40, s41                                    // 00000000365C: 81282928
	s_add_u32 s24, s40, s24                                    // 000000003660: 80181828
	s_addc_u32 s25, 0, s25                                     // 000000003664: 82191980
	s_mul_i32 s40, s4, s48                                     // 000000003668: 92283004
	s_mul_hi_u32 s42, s4, s48                                  // 00000000366C: 962A3004
	s_and_b32 s42, s42, 0xffff                                 // 000000003670: 862AFF2A 0000FFFF
	s_mul_i32 s41, s66, s47                                    // 000000003678: 92292F42
	s_add_u32 s40, s40, s41                                    // 00000000367C: 80282928
	s_add_u32 s12, s40, s12                                    // 000000003680: 800C0C28
	s_addc_u32 s13, s42, s13                                   // 000000003684: 820D0D2A
	s_mul_i32 s40, s4, s82                                     // 000000003688: 92285204
	s_mul_hi_u32 s42, s4, s82                                  // 00000000368C: 962A5204
	s_and_b32 s42, s42, 0xffff                                 // 000000003690: 862AFF2A 0000FFFF
	s_mul_i32 s41, s66, s81                                    // 000000003698: 92295142
	s_add_u32 s40, s40, s41                                    // 00000000369C: 80282928
	s_add_u32 s16, s40, s16                                    // 0000000036A0: 80101028
	s_addc_u32 s17, s42, s17                                   // 0000000036A4: 8211112A
	s_mov_b32 s52, 0                                           // 0000000036A8: BEB40080
	s_mov_b32 s53, 32                                          // 0000000036AC: BEB500A0
	s_mov_b32 s36, 0                                           // 0000000036B0: BEA40080
	s_mov_b32 s29, 0x3fb8aa3b                                  // 0000000036B4: BE9D00FF 3FB8AA3B
	v_mov_b32_e32 v31, 0xff800000                              // 0000000036BC: 7E3E02FF FF800000
	s_mov_b32 s59, 0                                           // 0000000036C4: BEBB0080
	s_lshr_b32 s54, s7, 5                                      // 0000000036C8: 8F368507
	s_lshl_b32 s54, s54, 5                                     // 0000000036CC: 8E368536
	v_lshrrev_b32_e32 v16, 5, v0                               // 0000000036D0: 20200085
	v_mul_i32_i24_e32 v30, 4, v16                              // 0000000036D4: 0C3C2084

00000000000036d8 <label_00F6>:
	s_add_u32 s38, s2, 1                                       // 0000000036D8: 80268102
	s_lshl_b32 s38, s38, 8                                     // 0000000036DC: 8E268826
	s_lshl_b32 s51, s2, 8                                      // 0000000036E0: 8E338802
	s_sub_i32 s40, s7, s30                                     // 0000000036E4: 81A81E07
	s_add_i32 s51, s51, s40                                    // 0000000036E8: 81332833
	s_ashr_i32 s51, s51, 5                                     // 0000000036EC: 90338533
	s_lshl_b32 s51, s51, 5                                     // 0000000036F0: 8E338533
	s_add_i32 s38, s38, s40                                    // 0000000036F4: 81262826
	s_cmp_lt_i32 s38, s7                                       // 0000000036F8: BF040726
	s_cselect_b32 s38, s38, s7                                 // 0000000036FC: 85260726
	s_cmp_lt_i32 s38, 32                                       // 000000003700: BF04A026
	s_cselect_b32 s38, 32, s38                                 // 000000003704: 852626A0
	s_nop 0                                                    // 000000003708: BF800000
	s_nop 0                                                    // 00000000370C: BF800000
	s_mul_i32 s40, s5, 32                                      // 000000003710: 9228A005
	v_lshrrev_b32_e32 v16, 5, v0                               // 000000003714: 20200085
	v_mul_i32_i24_e32 v16, 4, v16                              // 000000003718: 0C202084
	v_and_b32_e32 v29, 31, v0                                  // 00000000371C: 263A009F
	v_sub_i32 v29, v29, v16                                    // 000000003720: D29D001D 0002211D
	s_nop 0                                                    // 000000003728: BF800000
	v_add_i32 v29, v29, s40                                    // 00000000372C: D29C001D 0000511D
	s_mov_b32 s39, 0                                           // 000000003734: BEA70080
	v_mov_b32_e32 v17, s29                                     // 000000003738: 7E22021D
	v_mov_b32_e32 v16, s28                                     // 00000000373C: 7E20021C
	v_mul_f32_e32 v16, s29, v16                                // 000000003740: 0A20201D
	v_rcp_f32_e32 v17, v17                                     // 000000003744: 7E224511
	v_mov_b32_e32 v22, 0                                       // 000000003748: 7E2C0280
	v_mov_b32_e32 v28, 0xff7fffff                              // 00000000374C: 7E3802FF FF7FFFFF
	v_mov_b32_e32 v20, 0                                       // 000000003754: 7E280280
	v_mov_b32_e32 v22, 0                                       // 000000003758: 7E2C0280
	v_readfirstlane_b32 s56, v16                               // 00000000375C: 7E700510
	v_readfirstlane_b32 s45, v17                               // 000000003760: 7E5A0511
	v_rcp_f32_e32 v16, v16                                     // 000000003764: 7E204510
	s_nop 1                                                    // 000000003768: BF800001
	v_mul_f32_e32 v16, v28, v16                                // 00000000376C: 0A20211C
	v_max_f32_e32 v28, v28, v16                                // 000000003770: 1638211C
	s_mul_i32 s63, s2, s31                                     // 000000003774: 923F1F02
	v_lshlrev_b32_e32 v8, 2, v0                                // 000000003778: 24100082
	s_mul_i32 s40, s5, s62                                     // 00000000377C: 92283E05
	v_add_u32_e32 v8, s40, v8                                  // 000000003780: 68101028
	s_mul_i32 s41, 8, s62                                      // 000000003784: 92293E88
	v_add_u32_e32 v9, s41, v8                                  // 000000003788: 68121029
	v_add_u32_e32 v10, s41, v9                                 // 00000000378C: 68141229
	v_add_u32_e32 v11, s41, v10                                // 000000003790: 68161429
	v_add_u32_e32 v8, s63, v8                                  // 000000003794: 6810103F
	v_add_u32_e32 v9, s63, v9                                  // 000000003798: 6812123F
	v_add_u32_e32 v10, s63, v10                                // 00000000379C: 6814143F
	v_add_u32_e32 v11, s63, v11                                // 0000000037A0: 6816163F
	s_mul_i32 s40, s5, 0x110                                   // 0000000037A4: 9228FF05 00000110
	s_add_u32 s58, 0x4400, s40                                 // 0000000037AC: 803A28FF 00004400
	s_mov_b32 s57, s56                                         // 0000000037B4: BEB90038
	s_mov_b32 s40, 0                                           // 0000000037B8: BEA80080
	s_add_u32 m0, s40, s58                                     // 0000000037BC: 807C3A28
	s_mul_i32 s40, 0, s62                                      // 0000000037C0: 92283E80
	v_add_u32_e32 v4, s40, v8                                  // 0000000037C4: 68081028
	v_add_u32_e32 v5, s40, v9                                  // 0000000037C8: 680A1228
	v_add_u32_e32 v6, s40, v10                                 // 0000000037CC: 680C1428
	v_add_u32_e32 v7, s40, v11                                 // 0000000037D0: 680E1628
	buffer_load_dword v4, s[8:11], s59 offen lds               // 0000000037D4: E0511000 3B020004
	s_add_u32 m0, 0x880, m0                                    // 0000000037DC: 807C7CFF 00000880
	buffer_load_dword v5, s[8:11], s59 offen lds               // 0000000037E4: E0511000 3B020005
	s_add_u32 m0, 0x880, m0                                    // 0000000037EC: 807C7CFF 00000880
	buffer_load_dword v6, s[8:11], s59 offen lds               // 0000000037F4: E0511000 3B020006
	s_add_u32 m0, 0x880, m0                                    // 0000000037FC: 807C7CFF 00000880
	buffer_load_dword v7, s[8:11], s59 offen lds               // 000000003804: E0511000 3B020007
	s_add_u32 m0, 0x880, m0                                    // 00000000380C: 807C7CFF 00000880
	s_mov_b32 s40, 0x2200                                      // 000000003814: BEA800FF 00002200
	s_add_u32 m0, s40, s58                                     // 00000000381C: 807C3A28
	s_mul_i32 s40, 32, s62                                     // 000000003820: 92283EA0
	v_add_u32_e32 v4, s40, v8                                  // 000000003824: 68081028
	v_add_u32_e32 v5, s40, v9                                  // 000000003828: 680A1228
	v_add_u32_e32 v6, s40, v10                                 // 00000000382C: 680C1428
	v_add_u32_e32 v7, s40, v11                                 // 000000003830: 680E1628
	buffer_load_dword v4, s[8:11], s59 offen lds               // 000000003834: E0511000 3B020004
	s_add_u32 m0, 0x880, m0                                    // 00000000383C: 807C7CFF 00000880
	buffer_load_dword v5, s[8:11], s59 offen lds               // 000000003844: E0511000 3B020005
	s_add_u32 m0, 0x880, m0                                    // 00000000384C: 807C7CFF 00000880
	buffer_load_dword v6, s[8:11], s59 offen lds               // 000000003854: E0511000 3B020006
	s_add_u32 m0, 0x880, m0                                    // 00000000385C: 807C7CFF 00000880
	buffer_load_dword v7, s[8:11], s59 offen lds               // 000000003864: E0511000 3B020007
	s_add_u32 m0, 0x880, m0                                    // 00000000386C: 807C7CFF 00000880
	s_mov_b32 s40, 0x4400                                      // 000000003874: BEA800FF 00004400
	s_add_u32 m0, s40, s58                                     // 00000000387C: 807C3A28
	s_mul_i32 s40, 64, s62                                     // 000000003880: 92283EC0
	v_add_u32_e32 v4, s40, v8                                  // 000000003884: 68081028
	v_add_u32_e32 v5, s40, v9                                  // 000000003888: 680A1228
	v_add_u32_e32 v6, s40, v10                                 // 00000000388C: 680C1428
	v_add_u32_e32 v7, s40, v11                                 // 000000003890: 680E1628
	buffer_load_dword v4, s[8:11], s59 offen lds               // 000000003894: E0511000 3B020004
	s_add_u32 m0, 0x880, m0                                    // 00000000389C: 807C7CFF 00000880
	buffer_load_dword v5, s[8:11], s59 offen lds               // 0000000038A4: E0511000 3B020005
	s_add_u32 m0, 0x880, m0                                    // 0000000038AC: 807C7CFF 00000880
	buffer_load_dword v6, s[8:11], s59 offen lds               // 0000000038B4: E0511000 3B020006
	s_add_u32 m0, 0x880, m0                                    // 0000000038BC: 807C7CFF 00000880
	buffer_load_dword v7, s[8:11], s59 offen lds               // 0000000038C4: E0511000 3B020007
	s_add_u32 m0, 0x880, m0                                    // 0000000038CC: 807C7CFF 00000880
	s_mov_b32 s40, 0x6600                                      // 0000000038D4: BEA800FF 00006600
	s_add_u32 m0, s40, s58                                     // 0000000038DC: 807C3A28
	s_mul_i32 s40, 0x60, s62                                   // 0000000038E0: 92283EFF 00000060
	v_add_u32_e32 v4, s40, v8                                  // 0000000038E8: 68081028
	v_add_u32_e32 v5, s40, v9                                  // 0000000038EC: 680A1228
	v_add_u32_e32 v6, s40, v10                                 // 0000000038F0: 680C1428
	v_add_u32_e32 v7, s40, v11                                 // 0000000038F4: 680E1628
	buffer_load_dword v4, s[8:11], s59 offen lds               // 0000000038F8: E0511000 3B020004
	s_add_u32 m0, 0x880, m0                                    // 000000003900: 807C7CFF 00000880
	buffer_load_dword v5, s[8:11], s59 offen lds               // 000000003908: E0511000 3B020005
	s_add_u32 m0, 0x880, m0                                    // 000000003910: 807C7CFF 00000880
	buffer_load_dword v6, s[8:11], s59 offen lds               // 000000003918: E0511000 3B020006
	s_add_u32 m0, 0x880, m0                                    // 000000003920: 807C7CFF 00000880
	buffer_load_dword v7, s[8:11], s59 offen lds               // 000000003928: E0511000 3B020007
	s_add_u32 m0, 0x880, m0                                    // 000000003930: 807C7CFF 00000880
	v_mov_b32_e32 v96, 0                                       // 000000003938: 7EC00280
	v_mov_b32_e32 v97, 0                                       // 00000000393C: 7EC20280
	v_mov_b32_e32 v98, 0                                       // 000000003940: 7EC40280
	v_mov_b32_e32 v99, 0                                       // 000000003944: 7EC60280
	v_mov_b32_e32 v100, 0                                      // 000000003948: 7EC80280
	v_mov_b32_e32 v101, 0                                      // 00000000394C: 7ECA0280
	v_mov_b32_e32 v102, 0                                      // 000000003950: 7ECC0280
	v_mov_b32_e32 v103, 0                                      // 000000003954: 7ECE0280
	v_mov_b32_e32 v104, 0                                      // 000000003958: 7ED00280
	v_mov_b32_e32 v105, 0                                      // 00000000395C: 7ED20280
	v_mov_b32_e32 v106, 0                                      // 000000003960: 7ED40280
	v_mov_b32_e32 v107, 0                                      // 000000003964: 7ED60280
	v_mov_b32_e32 v108, 0                                      // 000000003968: 7ED80280
	v_mov_b32_e32 v109, 0                                      // 00000000396C: 7EDA0280
	v_mov_b32_e32 v110, 0                                      // 000000003970: 7EDC0280
	v_mov_b32_e32 v111, 0                                      // 000000003974: 7EDE0280
	v_mov_b32_e32 v112, 0                                      // 000000003978: 7EE00280
	v_mov_b32_e32 v113, 0                                      // 00000000397C: 7EE20280
	v_mov_b32_e32 v114, 0                                      // 000000003980: 7EE40280
	v_mov_b32_e32 v115, 0                                      // 000000003984: 7EE60280
	v_mov_b32_e32 v116, 0                                      // 000000003988: 7EE80280
	v_mov_b32_e32 v117, 0                                      // 00000000398C: 7EEA0280
	v_mov_b32_e32 v118, 0                                      // 000000003990: 7EEC0280
	v_mov_b32_e32 v119, 0                                      // 000000003994: 7EEE0280
	v_mov_b32_e32 v120, 0                                      // 000000003998: 7EF00280
	v_mov_b32_e32 v121, 0                                      // 00000000399C: 7EF20280
	v_mov_b32_e32 v122, 0                                      // 0000000039A0: 7EF40280
	v_mov_b32_e32 v123, 0                                      // 0000000039A4: 7EF60280
	v_mov_b32_e32 v124, 0                                      // 0000000039A8: 7EF80280
	v_mov_b32_e32 v125, 0                                      // 0000000039AC: 7EFA0280
	v_mov_b32_e32 v126, 0                                      // 0000000039B0: 7EFC0280
	v_mov_b32_e32 v127, 0                                      // 0000000039B4: 7EFE0280
	v_lshrrev_b32_e32 v16, 5, v0                               // 0000000039B8: 20200085
	v_mul_i32_i24_e32 v17, 4, v16                              // 0000000039BC: 0C222084
	v_and_b32_e32 v16, 31, v0                                  // 0000000039C0: 2620009F
	v_mul_i32_i24_e32 v2, 0x44, v16                            // 0000000039C4: 0C0420FF 00000044
	v_add_u32_e32 v2, v2, v17                                  // 0000000039CC: 68042302
	v_lshlrev_b32_e32 v2, 2, v2                                // 0000000039D0: 24040482
	s_and_b32 s40, 3, s5                                       // 0000000039D4: 86280583
	s_mul_i32 s40, s40, 0x2200                                 // 0000000039D8: 9228FF28 00002200
	v_add_u32_e32 v2, s40, v2                                  // 0000000039E0: 68040428
	s_waitcnt vmcnt(0) expcnt(0) lgkmcnt(0)                    // 0000000039E4: BF8C0000
	s_barrier                                                  // 0000000039E8: BF8A0000
	s_cmp_lt_i32 s5, 4                                         // 0000000039EC: BF048405
	s_cbranch_scc0 label_01CD                                  // 0000000039F0: BF840010
	ds_read_b128 v[160:163], v2 offset:17408                   // 0000000039F4: D9FE4400 A0000002
	ds_read_b128 v[164:167], v2 offset:17440                   // 0000000039FC: D9FE4420 A4000002
	ds_read_b128 v[168:171], v2 offset:17472                   // 000000003A04: D9FE4440 A8000002
	ds_read_b128 v[172:175], v2 offset:17504                   // 000000003A0C: D9FE4460 AC000002
	ds_read_b128 v[176:179], v2 offset:17536                   // 000000003A14: D9FE4480 B0000002
	ds_read_b128 v[180:183], v2 offset:17568                   // 000000003A1C: D9FE44A0 B4000002
	ds_read_b128 v[184:187], v2 offset:17600                   // 000000003A24: D9FE44C0 B8000002
	ds_read_b128 v[188:191], v2 offset:17632                   // 000000003A2C: D9FE44E0 BC000002

0000000000003a34 <label_01CD>:
	s_waitcnt vmcnt(0) expcnt(0) lgkmcnt(0)                    // 000000003A34: BF8C0000
	s_barrier                                                  // 000000003A38: BF8A0000
	s_mov_b32 s40, 0                                           // 000000003A3C: BEA80080
	s_add_u32 m0, s40, s58                                     // 000000003A40: 807C3A28
	s_mul_i32 s40, 0x80, s62                                   // 000000003A44: 92283EFF 00000080
	v_add_u32_e32 v4, s40, v8                                  // 000000003A4C: 68081028
	v_add_u32_e32 v5, s40, v9                                  // 000000003A50: 680A1228
	v_add_u32_e32 v6, s40, v10                                 // 000000003A54: 680C1428
	v_add_u32_e32 v7, s40, v11                                 // 000000003A58: 680E1628
	buffer_load_dword v4, s[8:11], s59 offen lds               // 000000003A5C: E0511000 3B020004
	s_add_u32 m0, 0x880, m0                                    // 000000003A64: 807C7CFF 00000880
	buffer_load_dword v5, s[8:11], s59 offen lds               // 000000003A6C: E0511000 3B020005
	s_add_u32 m0, 0x880, m0                                    // 000000003A74: 807C7CFF 00000880
	buffer_load_dword v6, s[8:11], s59 offen lds               // 000000003A7C: E0511000 3B020006
	s_add_u32 m0, 0x880, m0                                    // 000000003A84: 807C7CFF 00000880
	buffer_load_dword v7, s[8:11], s59 offen lds               // 000000003A8C: E0511000 3B020007
	s_add_u32 m0, 0x880, m0                                    // 000000003A94: 807C7CFF 00000880
	s_mov_b32 s40, 0x2200                                      // 000000003A9C: BEA800FF 00002200
	s_add_u32 m0, s40, s58                                     // 000000003AA4: 807C3A28
	s_mul_i32 s40, 0xa0, s62                                   // 000000003AA8: 92283EFF 000000A0
	v_add_u32_e32 v4, s40, v8                                  // 000000003AB0: 68081028
	v_add_u32_e32 v5, s40, v9                                  // 000000003AB4: 680A1228
	v_add_u32_e32 v6, s40, v10                                 // 000000003AB8: 680C1428
	v_add_u32_e32 v7, s40, v11                                 // 000000003ABC: 680E1628
	buffer_load_dword v4, s[8:11], s59 offen lds               // 000000003AC0: E0511000 3B020004
	s_add_u32 m0, 0x880, m0                                    // 000000003AC8: 807C7CFF 00000880
	buffer_load_dword v5, s[8:11], s59 offen lds               // 000000003AD0: E0511000 3B020005
	s_add_u32 m0, 0x880, m0                                    // 000000003AD8: 807C7CFF 00000880
	buffer_load_dword v6, s[8:11], s59 offen lds               // 000000003AE0: E0511000 3B020006
	s_add_u32 m0, 0x880, m0                                    // 000000003AE8: 807C7CFF 00000880
	buffer_load_dword v7, s[8:11], s59 offen lds               // 000000003AF0: E0511000 3B020007
	s_add_u32 m0, 0x880, m0                                    // 000000003AF8: 807C7CFF 00000880
	s_mov_b32 s40, 0x4400                                      // 000000003B00: BEA800FF 00004400
	s_add_u32 m0, s40, s58                                     // 000000003B08: 807C3A28
	s_mul_i32 s40, 0xc0, s62                                   // 000000003B0C: 92283EFF 000000C0
	v_add_u32_e32 v4, s40, v8                                  // 000000003B14: 68081028
	v_add_u32_e32 v5, s40, v9                                  // 000000003B18: 680A1228
	v_add_u32_e32 v6, s40, v10                                 // 000000003B1C: 680C1428
	v_add_u32_e32 v7, s40, v11                                 // 000000003B20: 680E1628
	buffer_load_dword v4, s[8:11], s59 offen lds               // 000000003B24: E0511000 3B020004
	s_add_u32 m0, 0x880, m0                                    // 000000003B2C: 807C7CFF 00000880
	buffer_load_dword v5, s[8:11], s59 offen lds               // 000000003B34: E0511000 3B020005
	s_add_u32 m0, 0x880, m0                                    // 000000003B3C: 807C7CFF 00000880
	buffer_load_dword v6, s[8:11], s59 offen lds               // 000000003B44: E0511000 3B020006
	s_add_u32 m0, 0x880, m0                                    // 000000003B4C: 807C7CFF 00000880
	buffer_load_dword v7, s[8:11], s59 offen lds               // 000000003B54: E0511000 3B020007
	s_add_u32 m0, 0x880, m0                                    // 000000003B5C: 807C7CFF 00000880
	s_mov_b32 s40, 0x6600                                      // 000000003B64: BEA800FF 00006600
	s_add_u32 m0, s40, s58                                     // 000000003B6C: 807C3A28
	s_mul_i32 s40, 0xe0, s62                                   // 000000003B70: 92283EFF 000000E0
	v_add_u32_e32 v4, s40, v8                                  // 000000003B78: 68081028
	v_add_u32_e32 v5, s40, v9                                  // 000000003B7C: 680A1228
	v_add_u32_e32 v6, s40, v10                                 // 000000003B80: 680C1428
	v_add_u32_e32 v7, s40, v11                                 // 000000003B84: 680E1628
	buffer_load_dword v4, s[8:11], s59 offen lds               // 000000003B88: E0511000 3B020004
	s_add_u32 m0, 0x880, m0                                    // 000000003B90: 807C7CFF 00000880
	buffer_load_dword v5, s[8:11], s59 offen lds               // 000000003B98: E0511000 3B020005
	s_add_u32 m0, 0x880, m0                                    // 000000003BA0: 807C7CFF 00000880
	buffer_load_dword v6, s[8:11], s59 offen lds               // 000000003BA8: E0511000 3B020006
	s_add_u32 m0, 0x880, m0                                    // 000000003BB0: 807C7CFF 00000880
	buffer_load_dword v7, s[8:11], s59 offen lds               // 000000003BB8: E0511000 3B020007
	s_add_u32 m0, 0x880, m0                                    // 000000003BC0: 807C7CFF 00000880
	v_mov_b32_e32 v128, 0                                      // 000000003BC8: 7F000280
	v_mov_b32_e32 v129, 0                                      // 000000003BCC: 7F020280
	v_mov_b32_e32 v130, 0                                      // 000000003BD0: 7F040280
	v_mov_b32_e32 v131, 0                                      // 000000003BD4: 7F060280
	v_mov_b32_e32 v132, 0                                      // 000000003BD8: 7F080280
	v_mov_b32_e32 v133, 0                                      // 000000003BDC: 7F0A0280
	v_mov_b32_e32 v134, 0                                      // 000000003BE0: 7F0C0280
	v_mov_b32_e32 v135, 0                                      // 000000003BE4: 7F0E0280
	v_mov_b32_e32 v136, 0                                      // 000000003BE8: 7F100280
	v_mov_b32_e32 v137, 0                                      // 000000003BEC: 7F120280
	v_mov_b32_e32 v138, 0                                      // 000000003BF0: 7F140280
	v_mov_b32_e32 v139, 0                                      // 000000003BF4: 7F160280
	v_mov_b32_e32 v140, 0                                      // 000000003BF8: 7F180280
	v_mov_b32_e32 v141, 0                                      // 000000003BFC: 7F1A0280
	v_mov_b32_e32 v142, 0                                      // 000000003C00: 7F1C0280
	v_mov_b32_e32 v143, 0                                      // 000000003C04: 7F1E0280
	v_mov_b32_e32 v144, 0                                      // 000000003C08: 7F200280
	v_mov_b32_e32 v145, 0                                      // 000000003C0C: 7F220280
	v_mov_b32_e32 v146, 0                                      // 000000003C10: 7F240280
	v_mov_b32_e32 v147, 0                                      // 000000003C14: 7F260280
	v_mov_b32_e32 v148, 0                                      // 000000003C18: 7F280280
	v_mov_b32_e32 v149, 0                                      // 000000003C1C: 7F2A0280
	v_mov_b32_e32 v150, 0                                      // 000000003C20: 7F2C0280
	v_mov_b32_e32 v151, 0                                      // 000000003C24: 7F2E0280
	v_mov_b32_e32 v152, 0                                      // 000000003C28: 7F300280
	v_mov_b32_e32 v153, 0                                      // 000000003C2C: 7F320280
	v_mov_b32_e32 v154, 0                                      // 000000003C30: 7F340280
	v_mov_b32_e32 v155, 0                                      // 000000003C34: 7F360280
	v_mov_b32_e32 v156, 0                                      // 000000003C38: 7F380280
	v_mov_b32_e32 v157, 0                                      // 000000003C3C: 7F3A0280
	v_mov_b32_e32 v158, 0                                      // 000000003C40: 7F3C0280
	v_mov_b32_e32 v159, 0                                      // 000000003C44: 7F3E0280
	s_cmp_le_u32 s7, 0                                         // 000000003C48: BF0B8007
	s_cbranch_scc1 label_0F66                                  // 000000003C4C: BF850D12
	v_lshrrev_b32_e32 v16, 5, v0                               // 000000003C50: 20200085
	v_mul_i32_i24_e32 v17, 4, v16                              // 000000003C54: 0C222084
	v_and_b32_e32 v16, 31, v0                                  // 000000003C58: 2620009F
	v_mul_i32_i24_e32 v12, 0x44, v16                           // 000000003C5C: 0C1820FF 00000044
	v_add_u32_e32 v12, v12, v17                                // 000000003C64: 6818230C
	v_lshlrev_b32_e32 v12, 2, v12                              // 000000003C68: 24181882
	v_lshrrev_b32_e32 v16, 5, v0                               // 000000003C6C: 20200085
	v_mul_i32_i24_e32 v17, 0x80, v16                           // 000000003C70: 0C2220FF 00000080
	v_and_b32_e32 v16, 30, v0                                  // 000000003C78: 2620009E
	v_add_u32_e32 v13, v17, v16                                // 000000003C7C: 681A2111
	v_and_b32_e32 v16, 1, v0                                   // 000000003C80: 26200081
	v_mul_i32_i24_e32 v16, 0x410, v16                          // 000000003C84: 0C2020FF 00000410
	v_add_u32_e32 v13, v16, v13                                // 000000003C8C: 681A1B10
	v_lshlrev_b32_e32 v13, 2, v13                              // 000000003C90: 241A1A82
	v_lshlrev_b32_e32 v14, 1, v0                               // 000000003C94: 241C0081
	s_mul_i32 s40, s5, 0x80                                    // 000000003C98: 9228FF05 00000080
	v_add_u32_e32 v14, s40, v14                                // 000000003CA0: 681C1C28
	v_lshlrev_b32_e32 v14, 2, v14                              // 000000003CA4: 241C1C82
	v_lshlrev_b32_e32 v4, 2, v0                                // 000000003CA8: 24080082
	s_mul_i32 s40, s5, s61                                     // 000000003CAC: 92283D05
	v_add_u32_e32 v4, s40, v4                                  // 000000003CB0: 68080828
	s_mul_i32 s41, 8, s61                                      // 000000003CB4: 92293D88
	v_add_u32_e32 v5, s41, v4                                  // 000000003CB8: 680A0829
	v_add_u32_e32 v6, s41, v5                                  // 000000003CBC: 680C0A29
	v_add_u32_e32 v7, s41, v6                                  // 000000003CC0: 680E0C29
	s_mul_i32 s40, s5, 0x110                                   // 000000003CC4: 9228FF05 00000110
	s_add_u32 s68, 0, s40                                      // 000000003CCC: 80442880
	s_add_u32 s69, 0x2200, s68                                 // 000000003CD0: 804544FF 00002200
	v_lshlrev_b32_e32 v8, 2, v0                                // 000000003CD8: 24100082
	s_mul_i32 s40, s5, s80                                     // 000000003CDC: 92285005
	s_mul_i32 s40, s40, 4                                      // 000000003CE0: 92288428
	v_add_u32_e32 v8, s40, v8                                  // 000000003CE4: 68101028
	v_add_u32_e32 v9, s80, v8                                  // 000000003CE8: 68121050
	v_add_u32_e32 v10, s80, v9                                 // 000000003CEC: 68141250
	v_add_u32_e32 v11, s80, v10                                // 000000003CF0: 68161450
	s_waitcnt vmcnt(0) expcnt(0) lgkmcnt(0)                    // 000000003CF4: BF8C0000
	s_barrier                                                  // 000000003CF8: BF8A0000
	s_cmp_lt_i32 s5, 4                                         // 000000003CFC: BF048405
	s_cbranch_scc1 label_0291                                  // 000000003D00: BF850010
	ds_read_b128 v[160:163], v2 offset:17408                   // 000000003D04: D9FE4400 A0000002
	ds_read_b128 v[164:167], v2 offset:17440                   // 000000003D0C: D9FE4420 A4000002
	ds_read_b128 v[168:171], v2 offset:17472                   // 000000003D14: D9FE4440 A8000002
	ds_read_b128 v[172:175], v2 offset:17504                   // 000000003D1C: D9FE4460 AC000002
	ds_read_b128 v[176:179], v2 offset:17536                   // 000000003D24: D9FE4480 B0000002
	ds_read_b128 v[180:183], v2 offset:17568                   // 000000003D2C: D9FE44A0 B4000002
	ds_read_b128 v[184:187], v2 offset:17600                   // 000000003D34: D9FE44C0 B8000002
	ds_read_b128 v[188:191], v2 offset:17632                   // 000000003D3C: D9FE44E0 BC000002

0000000000003d44 <label_0291>:
	s_waitcnt vmcnt(0) expcnt(0) lgkmcnt(0)                    // 000000003D44: BF8C0000
	s_barrier                                                  // 000000003D48: BF8A0000
	s_mov_b32 m0, s68                                          // 000000003D4C: BEFC0044
	buffer_load_dword v4, s[12:15], s60 offen lds              // 000000003D50: E0511000 3C030004
	s_add_u32 m0, 0x880, m0                                    // 000000003D58: 807C7CFF 00000880
	buffer_load_dword v5, s[12:15], s60 offen lds              // 000000003D60: E0511000 3C030005
	s_add_u32 m0, 0x880, m0                                    // 000000003D68: 807C7CFF 00000880
	buffer_load_dword v6, s[12:15], s60 offen lds              // 000000003D70: E0511000 3C030006
	s_add_u32 m0, 0x880, m0                                    // 000000003D78: 807C7CFF 00000880
	buffer_load_dword v7, s[12:15], s60 offen lds              // 000000003D80: E0511000 3C030007
	s_add_u32 m0, 0x880, m0                                    // 000000003D88: 807C7CFF 00000880
	s_add_i32 s60, s43, s60                                    // 000000003D90: 813C3C2B
	s_waitcnt vmcnt(0)                                         // 000000003D94: BF8C0F70
	s_barrier                                                  // 000000003D98: BF8A0000
	ds_read_b128 v[192:195], v12                               // 000000003D9C: D9FE0000 C000000C
	ds_read_b128 v[196:199], v12 offset:32                     // 000000003DA4: D9FE0020 C400000C
	ds_read_b128 v[200:203], v12 offset:64                     // 000000003DAC: D9FE0040 C800000C
	ds_read_b128 v[204:207], v12 offset:96                     // 000000003DB4: D9FE0060 CC00000C
	ds_read_b128 v[208:211], v12 offset:128                    // 000000003DBC: D9FE0080 D000000C
	ds_read_b128 v[212:215], v12 offset:160                    // 000000003DC4: D9FE00A0 D400000C
	ds_read_b128 v[216:219], v12 offset:192                    // 000000003DCC: D9FE00C0 D800000C
	ds_read_b128 v[220:223], v12 offset:224                    // 000000003DD4: D9FE00E0 DC00000C
	s_waitcnt lgkmcnt(0)                                       // 000000003DDC: BF8CC07F
	s_barrier                                                  // 000000003DE0: BF8A0000
	s_mov_b32 m0, s69                                          // 000000003DE4: BEFC0045
	v_mfma_f32_32x32x8_bf16 v[64:79], v[192:193], v[160:161], 0// 000000003DE8: D3E00040 020341C0
	buffer_load_dword v4, s[12:15], s60 offen lds              // 000000003DF0: E0511000 3C030004
	s_add_u32 m0, 0x880, m0                                    // 000000003DF8: 807C7CFF 00000880
	v_mfma_f32_32x32x8_bf16 v[64:79], v[194:195], v[162:163], v[64:79]// 000000003E00: D3E00040 050345C2
	v_mfma_f32_32x32x8_bf16 v[64:79], v[196:197], v[164:165], v[64:79]// 000000003E08: D3E00040 050349C4
	buffer_load_dword v5, s[12:15], s60 offen lds              // 000000003E10: E0511000 3C030005
	s_add_u32 m0, 0x880, m0                                    // 000000003E18: 807C7CFF 00000880
	v_mfma_f32_32x32x8_bf16 v[64:79], v[198:199], v[166:167], v[64:79]// 000000003E20: D3E00040 05034DC6
	v_mfma_f32_32x32x8_bf16 v[64:79], v[200:201], v[168:169], v[64:79]// 000000003E28: D3E00040 050351C8
	buffer_load_dword v6, s[12:15], s60 offen lds              // 000000003E30: E0511000 3C030006
	s_add_u32 m0, 0x880, m0                                    // 000000003E38: 807C7CFF 00000880
	v_mfma_f32_32x32x8_bf16 v[64:79], v[202:203], v[170:171], v[64:79]// 000000003E40: D3E00040 050355CA
	v_mfma_f32_32x32x8_bf16 v[64:79], v[204:205], v[172:173], v[64:79]// 000000003E48: D3E00040 050359CC
	buffer_load_dword v7, s[12:15], s60 offen lds              // 000000003E50: E0511000 3C030007
	s_add_u32 m0, 0x880, m0                                    // 000000003E58: 807C7CFF 00000880
	v_mfma_f32_32x32x8_bf16 v[64:79], v[206:207], v[174:175], v[64:79]// 000000003E60: D3E00040 05035DCE
	v_mfma_f32_32x32x8_bf16 v[64:79], v[208:209], v[176:177], v[64:79]// 000000003E68: D3E00040 050361D0
	buffer_load_dword v224, v8, s[16:19], s35 offen            // 000000003E70: E0501000 2304E008
	v_mfma_f32_32x32x8_bf16 v[64:79], v[210:211], v[178:179], v[64:79]// 000000003E78: D3E00040 050365D2
	v_mfma_f32_32x32x8_bf16 v[64:79], v[212:213], v[180:181], v[64:79]// 000000003E80: D3E00040 050369D4
	buffer_load_dword v225, v9, s[16:19], s35 offen            // 000000003E88: E0501000 2304E109
	v_mfma_f32_32x32x8_bf16 v[64:79], v[214:215], v[182:183], v[64:79]// 000000003E90: D3E00040 05036DD6
	v_mfma_f32_32x32x8_bf16 v[64:79], v[216:217], v[184:185], v[64:79]// 000000003E98: D3E00040 050371D8
	buffer_load_dword v226, v10, s[16:19], s35 offen           // 000000003EA0: E0501000 2304E20A
	v_mfma_f32_32x32x8_bf16 v[64:79], v[218:219], v[186:187], v[64:79]// 000000003EA8: D3E00040 050375DA
	v_mfma_f32_32x32x8_bf16 v[64:79], v[220:221], v[188:189], v[64:79]// 000000003EB0: D3E00040 050379DC
	buffer_load_dword v227, v11, s[16:19], s35 offen           // 000000003EB8: E0501000 2304E30B
	v_mfma_f32_32x32x8_bf16 v[64:79], v[222:223], v[190:191], v[64:79]// 000000003EC0: D3E00040 05037DDE
	s_add_i32 s60, s43, s60                                    // 000000003EC8: 813C3C2B
	s_add_i32 s35, s44, s35                                    // 000000003ECC: 8123232C
	s_cmp_lt_i32 s52, s51                                      // 000000003ED0: BF043334
	s_cbranch_scc1 label_0381                                  // 000000003ED4: BF85008B
	s_sub_i32 s40, s51, s52                                    // 000000003ED8: 81A83433
	s_sub_i32 s41, s7, s30                                     // 000000003EDC: 81A91E07
	s_and_b32 s41, s41, 31                                     // 000000003EE0: 86299F29
	s_add_i32 s40, s40, s41                                    // 000000003EE4: 81282928
	v_add_i32 v16, v29, s40                                    // 000000003EE8: D29C0010 0000511D
	v_cmp_lt_i32_e64 s[72:73], v16, 0                          // 000000003EF0: D0C10048 00010110
	v_cmp_lt_i32_e64 s[74:75], v16, 1                          // 000000003EF8: D0C1004A 00010310
	v_cndmask_b32_e64 v64, v64, v31, s[72:73]                  // 000000003F00: D1000040 01223F40
	v_cndmask_b32_e64 v65, v65, v31, s[74:75]                  // 000000003F08: D1000041 012A3F41
	v_cmp_lt_i32_e64 s[72:73], v16, 2                          // 000000003F10: D0C10048 00010510
	v_cmp_lt_i32_e64 s[74:75], v16, 3                          // 000000003F18: D0C1004A 00010710
	v_cndmask_b32_e64 v66, v66, v31, s[72:73]                  // 000000003F20: D1000042 01223F42
	v_cndmask_b32_e64 v67, v67, v31, s[74:75]                  // 000000003F28: D1000043 012A3F43
	v_cmp_lt_i32_e64 s[72:73], v16, 8                          // 000000003F30: D0C10048 00011110
	v_cmp_lt_i32_e64 s[74:75], v16, 9                          // 000000003F38: D0C1004A 00011310
	v_cndmask_b32_e64 v68, v68, v31, s[72:73]                  // 000000003F40: D1000044 01223F44
	v_cndmask_b32_e64 v69, v69, v31, s[74:75]                  // 000000003F48: D1000045 012A3F45
	v_cmp_lt_i32_e64 s[72:73], v16, 10                         // 000000003F50: D0C10048 00011510
	v_cmp_lt_i32_e64 s[74:75], v16, 11                         // 000000003F58: D0C1004A 00011710
	v_cndmask_b32_e64 v70, v70, v31, s[72:73]                  // 000000003F60: D1000046 01223F46
	v_cndmask_b32_e64 v71, v71, v31, s[74:75]                  // 000000003F68: D1000047 012A3F47
	v_cmp_lt_i32_e64 s[72:73], v16, 16                         // 000000003F70: D0C10048 00012110
	v_cmp_lt_i32_e64 s[74:75], v16, 17                         // 000000003F78: D0C1004A 00012310
	v_cndmask_b32_e64 v72, v72, v31, s[72:73]                  // 000000003F80: D1000048 01223F48
	v_cndmask_b32_e64 v73, v73, v31, s[74:75]                  // 000000003F88: D1000049 012A3F49
	v_cmp_lt_i32_e64 s[72:73], v16, 18                         // 000000003F90: D0C10048 00012510
	v_cmp_lt_i32_e64 s[74:75], v16, 19                         // 000000003F98: D0C1004A 00012710
	v_cndmask_b32_e64 v74, v74, v31, s[72:73]                  // 000000003FA0: D100004A 01223F4A
	v_cndmask_b32_e64 v75, v75, v31, s[74:75]                  // 000000003FA8: D100004B 012A3F4B
	v_cmp_lt_i32_e64 s[72:73], v16, 24                         // 000000003FB0: D0C10048 00013110
	v_cmp_lt_i32_e64 s[74:75], v16, 25                         // 000000003FB8: D0C1004A 00013310
	v_cndmask_b32_e64 v76, v76, v31, s[72:73]                  // 000000003FC0: D100004C 01223F4C
	v_cndmask_b32_e64 v77, v77, v31, s[74:75]                  // 000000003FC8: D100004D 012A3F4D
	v_cmp_lt_i32_e64 s[72:73], v16, 26                         // 000000003FD0: D0C10048 00013510
	v_cmp_lt_i32_e64 s[74:75], v16, 27                         // 000000003FD8: D0C1004A 00013710
	v_cndmask_b32_e64 v78, v78, v31, s[72:73]                  // 000000003FE0: D100004E 01223F4E
	v_cndmask_b32_e64 v79, v79, v31, s[74:75]                  // 000000003FE8: D100004F 012A3F4F
	s_cmp_lt_i32 s52, s54                                      // 000000003FF0: BF043634
	s_cbranch_scc1 label_0381                                  // 000000003FF4: BF850043
	s_sub_i32 s40, s7, s52                                     // 000000003FF8: 81A83407
	v_sub_i32 v16, s40, v30                                    // 000000003FFC: D29D0010 00023C28
	v_cmp_lt_i32_e64 s[72:73], 0, v16                          // 000000004004: D0C10048 00022080
	v_cmp_lt_i32_e64 s[74:75], 1, v16                          // 00000000400C: D0C1004A 00022081
	v_cndmask_b32_e64 v64, v31, v64, s[72:73]                  // 000000004014: D1000040 0122811F
	v_cndmask_b32_e64 v65, v31, v65, s[74:75]                  // 00000000401C: D1000041 012A831F
	v_cmp_lt_i32_e64 s[72:73], 2, v16                          // 000000004024: D0C10048 00022082
	v_cmp_lt_i32_e64 s[74:75], 3, v16                          // 00000000402C: D0C1004A 00022083
	v_cndmask_b32_e64 v66, v31, v66, s[72:73]                  // 000000004034: D1000042 0122851F
	v_cndmask_b32_e64 v67, v31, v67, s[74:75]                  // 00000000403C: D1000043 012A871F
	v_cmp_lt_i32_e64 s[72:73], 8, v16                          // 000000004044: D0C10048 00022088
	v_cmp_lt_i32_e64 s[74:75], 9, v16                          // 00000000404C: D0C1004A 00022089
	v_cndmask_b32_e64 v68, v31, v68, s[72:73]                  // 000000004054: D1000044 0122891F
	v_cndmask_b32_e64 v69, v31, v69, s[74:75]                  // 00000000405C: D1000045 012A8B1F
	v_cmp_lt_i32_e64 s[72:73], 10, v16                         // 000000004064: D0C10048 0002208A
	v_cmp_lt_i32_e64 s[74:75], 11, v16                         // 00000000406C: D0C1004A 0002208B
	v_cndmask_b32_e64 v70, v31, v70, s[72:73]                  // 000000004074: D1000046 01228D1F
	v_cndmask_b32_e64 v71, v31, v71, s[74:75]                  // 00000000407C: D1000047 012A8F1F
	v_cmp_lt_i32_e64 s[72:73], 16, v16                         // 000000004084: D0C10048 00022090
	v_cmp_lt_i32_e64 s[74:75], 17, v16                         // 00000000408C: D0C1004A 00022091
	v_cndmask_b32_e64 v72, v31, v72, s[72:73]                  // 000000004094: D1000048 0122911F
	v_cndmask_b32_e64 v73, v31, v73, s[74:75]                  // 00000000409C: D1000049 012A931F
	v_cmp_lt_i32_e64 s[72:73], 18, v16                         // 0000000040A4: D0C10048 00022092
	v_cmp_lt_i32_e64 s[74:75], 19, v16                         // 0000000040AC: D0C1004A 00022093
	v_cndmask_b32_e64 v74, v31, v74, s[72:73]                  // 0000000040B4: D100004A 0122951F
	v_cndmask_b32_e64 v75, v31, v75, s[74:75]                  // 0000000040BC: D100004B 012A971F
	v_cmp_lt_i32_e64 s[72:73], 24, v16                         // 0000000040C4: D0C10048 00022098
	v_cmp_lt_i32_e64 s[74:75], 25, v16                         // 0000000040CC: D0C1004A 00022099
	v_cndmask_b32_e64 v76, v31, v76, s[72:73]                  // 0000000040D4: D100004C 0122991F
	v_cndmask_b32_e64 v77, v31, v77, s[74:75]                  // 0000000040DC: D100004D 012A9B1F
	v_cmp_lt_i32_e64 s[72:73], 26, v16                         // 0000000040E4: D0C10048 0002209A
	v_cmp_lt_i32_e64 s[74:75], 27, v16                         // 0000000040EC: D0C1004A 0002209B
	v_cndmask_b32_e64 v78, v31, v78, s[72:73]                  // 0000000040F4: D100004E 01229D1F
	v_cndmask_b32_e64 v79, v31, v79, s[74:75]                  // 0000000040FC: D100004F 012A9F1F

0000000000004104 <label_0381>:
	v_max3_f32 v25, v64, v65, v28                              // 000000004104: D1D30019 04728340
	v_max3_f32 v25, v66, v67, v25                              // 00000000410C: D1D30019 04668742
	v_max3_f32 v25, v68, v69, v25                              // 000000004114: D1D30019 04668B44
	v_max3_f32 v25, v70, v71, v25                              // 00000000411C: D1D30019 04668F46
	v_max3_f32 v25, v72, v73, v25                              // 000000004124: D1D30019 04669348
	v_max3_f32 v25, v74, v75, v25                              // 00000000412C: D1D30019 0466974A
	v_max3_f32 v25, v76, v77, v25                              // 000000004134: D1D30019 04669B4C
	v_max3_f32 v25, v78, v79, v25                              // 00000000413C: D1D30019 04669F4E
	ds_permute_b32 v24, v32, v25                               // 000000004144: D87C0000 18001920
	v_nop                                                      // 00000000414C: 7E000000
	s_nop 0                                                    // 000000004150: BF800000
	v_nop                                                      // 000000004154: 7E000000
	s_waitcnt lgkmcnt(0)                                       // 000000004158: BF8CC07F
	v_max_f32_e32 v25, v24, v25                                // 00000000415C: 16323318
	v_mov_b32_e32 v20, 0                                       // 000000004160: 7E280280
	v_mov_b32_e32 v28, v25                                     // 000000004164: 7E380319
	v_mul_f32_e32 v27, s56, v25                                // 000000004168: 0A363238
	v_mul_f32_e32 v20, s56, v20                                // 00000000416C: 0A282838
	v_exp_f32_e32 v20, v20                                     // 000000004170: 7E284114
	v_fma_f32 v64, v64, s56, -v27                              // 000000004174: D1CB0040 846C7140
	v_fma_f32 v65, v65, s56, -v27                              // 00000000417C: D1CB0041 846C7141
	v_fma_f32 v66, v66, s56, -v27                              // 000000004184: D1CB0042 846C7142
	v_fma_f32 v67, v67, s56, -v27                              // 00000000418C: D1CB0043 846C7143
	v_fma_f32 v68, v68, s56, -v27                              // 000000004194: D1CB0044 846C7144
	v_fma_f32 v69, v69, s56, -v27                              // 00000000419C: D1CB0045 846C7145
	v_fma_f32 v70, v70, s56, -v27                              // 0000000041A4: D1CB0046 846C7146
	v_fma_f32 v71, v71, s56, -v27                              // 0000000041AC: D1CB0047 846C7147
	v_fma_f32 v72, v72, s56, -v27                              // 0000000041B4: D1CB0048 846C7148
	v_fma_f32 v73, v73, s56, -v27                              // 0000000041BC: D1CB0049 846C7149
	v_fma_f32 v74, v74, s56, -v27                              // 0000000041C4: D1CB004A 846C714A
	v_fma_f32 v75, v75, s56, -v27                              // 0000000041CC: D1CB004B 846C714B
	v_fma_f32 v76, v76, s56, -v27                              // 0000000041D4: D1CB004C 846C714C
	v_fma_f32 v77, v77, s56, -v27                              // 0000000041DC: D1CB004D 846C714D
	v_fma_f32 v78, v78, s56, -v27                              // 0000000041E4: D1CB004E 846C714E
	v_fma_f32 v79, v79, s56, -v27                              // 0000000041EC: D1CB004F 846C714F
	v_exp_f32_e32 v64, v64                                     // 0000000041F4: 7E804140
	v_exp_f32_e32 v65, v65                                     // 0000000041F8: 7E824141
	v_exp_f32_e32 v66, v66                                     // 0000000041FC: 7E844142
	v_exp_f32_e32 v67, v67                                     // 000000004200: 7E864143
	v_exp_f32_e32 v68, v68                                     // 000000004204: 7E884144
	v_exp_f32_e32 v69, v69                                     // 000000004208: 7E8A4145
	v_exp_f32_e32 v70, v70                                     // 00000000420C: 7E8C4146
	v_exp_f32_e32 v71, v71                                     // 000000004210: 7E8E4147
	v_exp_f32_e32 v72, v72                                     // 000000004214: 7E904148
	v_exp_f32_e32 v73, v73                                     // 000000004218: 7E924149
	v_exp_f32_e32 v74, v74                                     // 00000000421C: 7E94414A
	v_exp_f32_e32 v75, v75                                     // 000000004220: 7E96414B
	v_exp_f32_e32 v76, v76                                     // 000000004224: 7E98414C
	v_exp_f32_e32 v77, v77                                     // 000000004228: 7E9A414D
	v_exp_f32_e32 v78, v78                                     // 00000000422C: 7E9C414E
	s_addk_i32 s39, 0x20                                       // 000000004230: B7270020
	s_add_i32 s52, s52, s53                                    // 000000004234: 81343534
	s_mov_b32 m0, s68                                          // 000000004238: BEFC0044
	buffer_load_dword v4, s[12:15], s60 offen lds              // 00000000423C: E0511000 3C030004
	s_add_u32 m0, 0x880, m0                                    // 000000004244: 807C7CFF 00000880
	buffer_load_dword v5, s[12:15], s60 offen lds              // 00000000424C: E0511000 3C030005
	s_add_u32 m0, 0x880, m0                                    // 000000004254: 807C7CFF 00000880
	buffer_load_dword v6, s[12:15], s60 offen lds              // 00000000425C: E0511000 3C030006
	s_add_u32 m0, 0x880, m0                                    // 000000004264: 807C7CFF 00000880
	buffer_load_dword v7, s[12:15], s60 offen lds              // 00000000426C: E0511000 3C030007
	s_add_u32 m0, 0x880, m0                                    // 000000004274: 807C7CFF 00000880
	s_add_i32 s60, s43, s60                                    // 00000000427C: 813C3C2B
	s_waitcnt vmcnt(8)                                         // 000000004280: BF8C0F78
	s_barrier                                                  // 000000004284: BF8A0000
	s_cmp_lt_i32 s39, s38                                      // 000000004288: BF042627
	s_cbranch_scc0 label_0D3A                                  // 00000000428C: BF840956
	s_cmp_lt_i32 s5, 4                                         // 000000004290: BF048405
	s_cbranch_scc0 label_08A1                                  // 000000004294: BF8404BB
	buffer_load_dword v228, v8, s[16:19], s35 offen            // 000000004298: E0501000 2304E408
	buffer_load_dword v229, v9, s[16:19], s35 offen            // 0000000042A0: E0501000 2304E509
	buffer_load_dword v230, v10, s[16:19], s35 offen           // 0000000042A8: E0501000 2304E60A
	buffer_load_dword v231, v11, s[16:19], s35 offen           // 0000000042B0: E0501000 2304E70B
	s_add_i32 s35, s44, s35                                    // 0000000042B8: 8123232C
	ds_read_b128 v[192:195], v12 offset:8704                   // 0000000042BC: D9FE2200 C000000C
	ds_read_b128 v[196:199], v12 offset:8736                   // 0000000042C4: D9FE2220 C400000C
	ds_read_b128 v[200:203], v12 offset:8768                   // 0000000042CC: D9FE2240 C800000C
	ds_read_b128 v[204:207], v12 offset:8800                   // 0000000042D4: D9FE2260 CC00000C
	ds_read_b128 v[208:211], v12 offset:8832                   // 0000000042DC: D9FE2280 D000000C
	ds_read_b128 v[212:215], v12 offset:8864                   // 0000000042E4: D9FE22A0 D400000C
	ds_read_b128 v[216:219], v12 offset:8896                   // 0000000042EC: D9FE22C0 D800000C
	ds_read_b128 v[220:223], v12 offset:8928                   // 0000000042F4: D9FE22E0 DC00000C
	s_setprio 0                                                // 0000000042FC: BF8F0000
	s_barrier                                                  // 000000004300: BF8A0000

0000000000004304 <label_0401>:
	s_waitcnt lgkmcnt(0)                                       // 000000004304: BF8CC07F
	v_mfma_f32_32x32x8_bf16 v[80:95], v[192:193], v[160:161], 0// 000000004308: D3E00050 020341C0
	v_exp_f32_e32 v79, v79                                     // 000000004310: 7E9E414F
	v_mul_f32_e32 v22, v20, v22                                // 000000004314: 0A2C2D14
	v_add_f32_e32 v38, v65, v64                                // 000000004318: 024C8141
	v_add_f32_e32 v38, v66, v38                                // 00000000431C: 024C4D42
	v_mfma_f32_32x32x8_bf16 v[80:95], v[194:195], v[162:163], v[80:95]// 000000004320: D3E00050 054345C2
	v_add_f32_e32 v38, v67, v38                                // 000000004328: 024C4D43
	v_add_f32_e32 v38, v68, v38                                // 00000000432C: 024C4D44
	v_add_f32_e32 v38, v69, v38                                // 000000004330: 024C4D45
	v_add_f32_e32 v38, v70, v38                                // 000000004334: 024C4D46
	v_add_f32_e32 v38, v71, v38                                // 000000004338: 024C4D47
	v_add_f32_e32 v38, v72, v38                                // 00000000433C: 024C4D48
	v_add_f32_e32 v38, v73, v38                                // 000000004340: 024C4D49
	v_mfma_f32_32x32x8_bf16 v[80:95], v[196:197], v[164:165], v[80:95]// 000000004344: D3E00050 054349C4
	v_add_f32_e32 v38, v74, v38                                // 00000000434C: 024C4D4A
	v_add_f32_e32 v38, v75, v38                                // 000000004350: 024C4D4B
	v_add_f32_e32 v38, v76, v38                                // 000000004354: 024C4D4C
	v_add_f32_e32 v38, v77, v38                                // 000000004358: 024C4D4D
	v_add_f32_e32 v38, v78, v38                                // 00000000435C: 024C4D4E
	v_add_f32_e32 v38, v79, v38                                // 000000004360: 024C4D4F
	v_add_f32_e32 v22, v38, v22                                // 000000004364: 022C2D26
	v_mfma_f32_32x32x8_bf16 v[80:95], v[198:199], v[166:167], v[80:95]// 000000004368: D3E00050 05434DC6
	v_mul_f32_e32 v96, v20, v96                                // 000000004370: 0AC0C114
	v_mul_f32_e32 v97, v20, v97                                // 000000004374: 0AC2C314
	v_mul_f32_e32 v98, v20, v98                                // 000000004378: 0AC4C514
	v_mul_f32_e32 v99, v20, v99                                // 00000000437C: 0AC6C714
	v_mul_f32_e32 v100, v20, v100                              // 000000004380: 0AC8C914
	v_mul_f32_e32 v101, v20, v101                              // 000000004384: 0ACACB14
	v_mul_f32_e32 v102, v20, v102                              // 000000004388: 0ACCCD14
	v_mfma_f32_32x32x8_bf16 v[80:95], v[200:201], v[168:169], v[80:95]// 00000000438C: D3E00050 054351C8
	v_mul_f32_e32 v103, v20, v103                              // 000000004394: 0ACECF14
	v_mul_f32_e32 v104, v20, v104                              // 000000004398: 0AD0D114
	v_mul_f32_e32 v105, v20, v105                              // 00000000439C: 0AD2D314
	v_mul_f32_e32 v106, v20, v106                              // 0000000043A0: 0AD4D514
	v_mul_f32_e32 v107, v20, v107                              // 0000000043A4: 0AD6D714
	v_mul_f32_e32 v108, v20, v108                              // 0000000043A8: 0AD8D914
	v_mul_f32_e32 v109, v20, v109                              // 0000000043AC: 0ADADB14
	v_mfma_f32_32x32x8_bf16 v[80:95], v[202:203], v[170:171], v[80:95]// 0000000043B0: D3E00050 054355CA
	v_mul_f32_e32 v110, v20, v110                              // 0000000043B8: 0ADCDD14
	v_mul_f32_e32 v111, v20, v111                              // 0000000043BC: 0ADEDF14
	v_mul_f32_e32 v112, v20, v112                              // 0000000043C0: 0AE0E114
	v_mul_f32_e32 v113, v20, v113                              // 0000000043C4: 0AE2E314
	v_mul_f32_e32 v114, v20, v114                              // 0000000043C8: 0AE4E514
	v_mul_f32_e32 v115, v20, v115                              // 0000000043CC: 0AE6E714
	v_mul_f32_e32 v116, v20, v116                              // 0000000043D0: 0AE8E914
	v_mfma_f32_32x32x8_bf16 v[80:95], v[204:205], v[172:173], v[80:95]// 0000000043D4: D3E00050 054359CC
	v_mul_f32_e32 v117, v20, v117                              // 0000000043DC: 0AEAEB14
	v_mul_f32_e32 v118, v20, v118                              // 0000000043E0: 0AECED14
	v_mul_f32_e32 v119, v20, v119                              // 0000000043E4: 0AEEEF14
	v_mul_f32_e32 v120, v20, v120                              // 0000000043E8: 0AF0F114
	v_mul_f32_e32 v121, v20, v121                              // 0000000043EC: 0AF2F314
	v_mul_f32_e32 v122, v20, v122                              // 0000000043F0: 0AF4F514
	v_mul_f32_e32 v123, v20, v123                              // 0000000043F4: 0AF6F714
	v_mfma_f32_32x32x8_bf16 v[80:95], v[206:207], v[174:175], v[80:95]// 0000000043F8: D3E00050 05435DCE
	v_mul_f32_e32 v124, v20, v124                              // 000000004400: 0AF8F914
	v_mul_f32_e32 v125, v20, v125                              // 000000004404: 0AFAFB14
	v_mul_f32_e32 v126, v20, v126                              // 000000004408: 0AFCFD14
	v_mul_f32_e32 v127, v20, v127                              // 00000000440C: 0AFEFF14
	v_mul_f32_e32 v128, v20, v128                              // 000000004410: 0B010114
	v_mul_f32_e32 v129, v20, v129                              // 000000004414: 0B030314
	v_mul_f32_e32 v130, v20, v130                              // 000000004418: 0B050514
	v_mfma_f32_32x32x8_bf16 v[80:95], v[208:209], v[176:177], v[80:95]// 00000000441C: D3E00050 054361D0
	v_mul_f32_e32 v131, v20, v131                              // 000000004424: 0B070714
	v_mul_f32_e32 v132, v20, v132                              // 000000004428: 0B090914
	v_mul_f32_e32 v133, v20, v133                              // 00000000442C: 0B0B0B14
	v_mul_f32_e32 v134, v20, v134                              // 000000004430: 0B0D0D14
	v_mul_f32_e32 v135, v20, v135                              // 000000004434: 0B0F0F14
	v_mul_f32_e32 v136, v20, v136                              // 000000004438: 0B111114
	v_mul_f32_e32 v137, v20, v137                              // 00000000443C: 0B131314
	v_mfma_f32_32x32x8_bf16 v[80:95], v[210:211], v[178:179], v[80:95]// 000000004440: D3E00050 054365D2
	v_mul_f32_e32 v138, v20, v138                              // 000000004448: 0B151514
	v_mul_f32_e32 v139, v20, v139                              // 00000000444C: 0B171714
	v_mul_f32_e32 v140, v20, v140                              // 000000004450: 0B191914
	v_mul_f32_e32 v141, v20, v141                              // 000000004454: 0B1B1B14
	v_mul_f32_e32 v142, v20, v142                              // 000000004458: 0B1D1D14
	v_mul_f32_e32 v143, v20, v143                              // 00000000445C: 0B1F1F14
	v_mul_f32_e32 v144, v20, v144                              // 000000004460: 0B212114
	v_mfma_f32_32x32x8_bf16 v[80:95], v[212:213], v[180:181], v[80:95]// 000000004464: D3E00050 054369D4
	v_mul_f32_e32 v145, v20, v145                              // 00000000446C: 0B232314
	v_mul_f32_e32 v146, v20, v146                              // 000000004470: 0B252514
	v_mul_f32_e32 v147, v20, v147                              // 000000004474: 0B272714
	v_mul_f32_e32 v148, v20, v148                              // 000000004478: 0B292914
	v_mul_f32_e32 v149, v20, v149                              // 00000000447C: 0B2B2B14
	v_mul_f32_e32 v150, v20, v150                              // 000000004480: 0B2D2D14
	v_mul_f32_e32 v151, v20, v151                              // 000000004484: 0B2F2F14
	v_mfma_f32_32x32x8_bf16 v[80:95], v[214:215], v[182:183], v[80:95]// 000000004488: D3E00050 05436DD6
	s_waitcnt vmcnt(8)                                         // 000000004490: BF8C0F78
	s_barrier                                                  // 000000004494: BF8A0000
	v_mfma_f32_32x32x8_bf16 v[80:95], v[216:217], v[184:185], v[80:95]// 000000004498: D3E00050 054371D8
	v_mul_f32_e32 v152, v20, v152                              // 0000000044A0: 0B313114
	v_mul_f32_e32 v153, v20, v153                              // 0000000044A4: 0B333314
	v_mul_f32_e32 v154, v20, v154                              // 0000000044A8: 0B353514
	v_mul_f32_e32 v155, v20, v155                              // 0000000044AC: 0B373714
	v_mul_f32_e32 v156, v20, v156                              // 0000000044B0: 0B393914
	v_mul_f32_e32 v157, v20, v157                              // 0000000044B4: 0B3B3B14
	v_mul_f32_e32 v158, v20, v158                              // 0000000044B8: 0B3D3D14
	v_mfma_f32_32x32x8_bf16 v[80:95], v[218:219], v[186:187], v[80:95]// 0000000044BC: D3E00050 054375DA
	v_mul_f32_e32 v159, v20, v159                              // 0000000044C4: 0B3F3F14
	v_cmp_u_f32_e64 s[70:71], v64, v64                         // 0000000044C8: D0480046 00028140
	v_add3_u32 v40, v64, v43, 1                                // 0000000044D0: D1FF0028 02065740
	v_cndmask_b32_e64 v16, v40, v42, s[70:71]                  // 0000000044D8: D1000010 011A5528
	v_cmp_u_f32_e64 s[70:71], v65, v65                         // 0000000044E0: D0480046 00028341
	v_add3_u32 v40, v65, v43, 1                                // 0000000044E8: D1FF0028 02065741
	v_cndmask_b32_e64 v17, v40, v42, s[70:71]                  // 0000000044F0: D1000011 011A5528
	v_perm_b32 v64, v17, v16, s49                              // 0000000044F8: D1ED0040 00C62111
	v_cmp_u_f32_e64 s[70:71], v66, v66                         // 000000004500: D0480046 00028542
	v_add3_u32 v40, v66, v43, 1                                // 000000004508: D1FF0028 02065742
	v_cndmask_b32_e64 v16, v40, v42, s[70:71]                  // 000000004510: D1000010 011A5528
	v_cmp_u_f32_e64 s[70:71], v67, v67                         // 000000004518: D0480046 00028743
	v_add3_u32 v40, v67, v43, 1                                // 000000004520: D1FF0028 02065743
	v_cndmask_b32_e64 v17, v40, v42, s[70:71]                  // 000000004528: D1000011 011A5528
	v_perm_b32 v65, v17, v16, s49                              // 000000004530: D1ED0041 00C62111
	v_cmp_u_f32_e64 s[70:71], v68, v68                         // 000000004538: D0480046 00028944
	v_add3_u32 v40, v68, v43, 1                                // 000000004540: D1FF0028 02065744
	v_cndmask_b32_e64 v16, v40, v42, s[70:71]                  // 000000004548: D1000010 011A5528
	v_cmp_u_f32_e64 s[70:71], v69, v69                         // 000000004550: D0480046 00028B45
	v_add3_u32 v40, v69, v43, 1                                // 000000004558: D1FF0028 02065745
	v_cndmask_b32_e64 v17, v40, v42, s[70:71]                  // 000000004560: D1000011 011A5528
	v_perm_b32 v66, v17, v16, s49                              // 000000004568: D1ED0042 00C62111
	v_mfma_f32_32x32x8_bf16 v[80:95], v[220:221], v[188:189], v[80:95]// 000000004570: D3E00050 054379DC
	v_cmp_u_f32_e64 s[70:71], v70, v70                         // 000000004578: D0480046 00028D46
	v_add3_u32 v40, v70, v43, 1                                // 000000004580: D1FF0028 02065746
	v_cndmask_b32_e64 v16, v40, v42, s[70:71]                  // 000000004588: D1000010 011A5528
	v_cmp_u_f32_e64 s[70:71], v71, v71                         // 000000004590: D0480046 00028F47
	v_add3_u32 v40, v71, v43, 1                                // 000000004598: D1FF0028 02065747
	v_cndmask_b32_e64 v17, v40, v42, s[70:71]                  // 0000000045A0: D1000011 011A5528
	v_perm_b32 v67, v17, v16, s49                              // 0000000045A8: D1ED0043 00C62111
	v_cmp_u_f32_e64 s[70:71], v72, v72                         // 0000000045B0: D0480046 00029148
	v_add3_u32 v40, v72, v43, 1                                // 0000000045B8: D1FF0028 02065748
	v_cndmask_b32_e64 v16, v40, v42, s[70:71]                  // 0000000045C0: D1000010 011A5528
	v_cmp_u_f32_e64 s[70:71], v73, v73                         // 0000000045C8: D0480046 00029349
	v_add3_u32 v40, v73, v43, 1                                // 0000000045D0: D1FF0028 02065749
	v_cndmask_b32_e64 v17, v40, v42, s[70:71]                  // 0000000045D8: D1000011 011A5528
	v_perm_b32 v68, v17, v16, s49                              // 0000000045E0: D1ED0044 00C62111
	v_cmp_u_f32_e64 s[70:71], v74, v74                         // 0000000045E8: D0480046 0002954A
	v_add3_u32 v40, v74, v43, 1                                // 0000000045F0: D1FF0028 0206574A
	v_cndmask_b32_e64 v16, v40, v42, s[70:71]                  // 0000000045F8: D1000010 011A5528
	v_cmp_u_f32_e64 s[70:71], v75, v75                         // 000000004600: D0480046 0002974B
	v_add3_u32 v40, v75, v43, 1                                // 000000004608: D1FF0028 0206574B
	v_cndmask_b32_e64 v17, v40, v42, s[70:71]                  // 000000004610: D1000011 011A5528
	v_perm_b32 v69, v17, v16, s49                              // 000000004618: D1ED0045 00C62111
	v_cmp_u_f32_e64 s[70:71], v76, v76                         // 000000004620: D0480046 0002994C
	v_add3_u32 v40, v76, v43, 1                                // 000000004628: D1FF0028 0206574C
	v_cndmask_b32_e64 v16, v40, v42, s[70:71]                  // 000000004630: D1000010 011A5528
	v_cmp_u_f32_e64 s[70:71], v77, v77                         // 000000004638: D0480046 00029B4D
	v_add3_u32 v40, v77, v43, 1                                // 000000004640: D1FF0028 0206574D
	v_cndmask_b32_e64 v17, v40, v42, s[70:71]                  // 000000004648: D1000011 011A5528
	v_perm_b32 v70, v17, v16, s49                              // 000000004650: D1ED0046 00C62111
	v_cmp_u_f32_e64 s[70:71], v78, v78                         // 000000004658: D0480046 00029D4E
	v_add3_u32 v40, v78, v43, 1                                // 000000004660: D1FF0028 0206574E
	v_cndmask_b32_e64 v16, v40, v42, s[70:71]                  // 000000004668: D1000010 011A5528
	v_cmp_u_f32_e64 s[70:71], v79, v79                         // 000000004670: D0480046 00029F4F
	v_add3_u32 v40, v79, v43, 1                                // 000000004678: D1FF0028 0206574F
	v_cndmask_b32_e64 v17, v40, v42, s[70:71]                  // 000000004680: D1000011 011A5528
	v_perm_b32 v71, v17, v16, s49                              // 000000004688: D1ED0047 00C62111
	v_mfma_f32_32x32x8_bf16 v[80:95], v[222:223], v[190:191], v[80:95]// 000000004690: D3E00050 05437DDE
	v_perm_b32 v232, v225, v224, s50                           // 000000004698: D1ED00E8 00CBC1E1
	v_perm_b32 v234, v225, v224, s49                           // 0000000046A0: D1ED00EA 00C7C1E1
	v_perm_b32 v233, v227, v226, s50                           // 0000000046A8: D1ED00E9 00CBC5E3
	v_perm_b32 v235, v227, v226, s49                           // 0000000046B0: D1ED00EB 00C7C5E3
	s_barrier                                                  // 0000000046B8: BF8A0000
	ds_write_b64 v14, v[232:233] offset:17408                  // 0000000046BC: D89A4400 0000E80E
	ds_write_b64 v14, v[234:235] offset:21568                  // 0000000046C4: D89A5440 0000EA0E
	s_waitcnt lgkmcnt(0)                                       // 0000000046CC: BF8CC07F
	s_barrier                                                  // 0000000046D0: BF8A0000
	s_mov_b32 m0, s69                                          // 0000000046D4: BEFC0045
	ds_read_b64 v[192:193], v13 offset:17408                   // 0000000046D8: D8EC4400 C000000D
	ds_read_b64 v[194:195], v13 offset:18432                   // 0000000046E0: D8EC4800 C200000D
	ds_read_b64 v[196:197], v13 offset:19456                   // 0000000046E8: D8EC4C00 C400000D
	ds_read_b64 v[198:199], v13 offset:20480                   // 0000000046F0: D8EC5000 C600000D
	buffer_load_dword v4, s[12:15], s60 offen lds              // 0000000046F8: E0511000 3C030004
	s_add_u32 m0, 0x880, m0                                    // 000000004700: 807C7CFF 00000880
	ds_read_b64 v[200:201], v13 offset:17536                   // 000000004708: D8EC4480 C800000D
	ds_read_b64 v[202:203], v13 offset:18560                   // 000000004710: D8EC4880 CA00000D
	ds_read_b64 v[204:205], v13 offset:19584                   // 000000004718: D8EC4C80 CC00000D
	ds_read_b64 v[206:207], v13 offset:20608                   // 000000004720: D8EC5080 CE00000D
	buffer_load_dword v5, s[12:15], s60 offen lds              // 000000004728: E0511000 3C030005
	s_add_u32 m0, 0x880, m0                                    // 000000004730: 807C7CFF 00000880
	ds_read_b64 v[208:209], v13 offset:17664                   // 000000004738: D8EC4500 D000000D
	ds_read_b64 v[210:211], v13 offset:18688                   // 000000004740: D8EC4900 D200000D
	ds_read_b64 v[212:213], v13 offset:19712                   // 000000004748: D8EC4D00 D400000D
	ds_read_b64 v[214:215], v13 offset:20736                   // 000000004750: D8EC5100 D600000D
	buffer_load_dword v6, s[12:15], s60 offen lds              // 000000004758: E0511000 3C030006
	s_add_u32 m0, 0x880, m0                                    // 000000004760: 807C7CFF 00000880
	ds_read_b64 v[216:217], v13 offset:17792                   // 000000004768: D8EC4580 D800000D
	ds_read_b64 v[218:219], v13 offset:18816                   // 000000004770: D8EC4980 DA00000D
	ds_read_b64 v[220:221], v13 offset:19840                   // 000000004778: D8EC4D80 DC00000D
	ds_read_b64 v[222:223], v13 offset:20864                   // 000000004780: D8EC5180 DE00000D
	buffer_load_dword v7, s[12:15], s60 offen lds              // 000000004788: E0511000 3C030007
	s_add_u32 m0, 0x880, m0                                    // 000000004790: 807C7CFF 00000880
	s_add_i32 s60, s43, s60                                    // 000000004798: 813C3C2B
	s_add_u32 s40, 0x80, s39                                   // 00000000479C: 802827FF 00000080
	s_cmp_lt_u32 s40, s38                                      // 0000000047A4: BF0A2628
	s_cselect_b32 s43, s43, 0                                  // 0000000047A8: 852B802B
	s_nop 0                                                    // 0000000047AC: BF800000
	s_cmp_lt_i32 s52, s51                                      // 0000000047B0: BF043334
	s_cbranch_scc1 label_05B9                                  // 0000000047B4: BF85008B
	s_sub_i32 s40, s51, s52                                    // 0000000047B8: 81A83433
	s_sub_i32 s41, s7, s30                                     // 0000000047BC: 81A91E07
	s_and_b32 s41, s41, 31                                     // 0000000047C0: 86299F29
	s_add_i32 s40, s40, s41                                    // 0000000047C4: 81282928
	v_add_i32 v16, v29, s40                                    // 0000000047C8: D29C0010 0000511D
	v_cmp_lt_i32_e64 s[72:73], v16, 0                          // 0000000047D0: D0C10048 00010110
	v_cmp_lt_i32_e64 s[74:75], v16, 1                          // 0000000047D8: D0C1004A 00010310
	v_cndmask_b32_e64 v80, v80, v31, s[72:73]                  // 0000000047E0: D1000050 01223F50
	v_cndmask_b32_e64 v81, v81, v31, s[74:75]                  // 0000000047E8: D1000051 012A3F51
	v_cmp_lt_i32_e64 s[72:73], v16, 2                          // 0000000047F0: D0C10048 00010510
	v_cmp_lt_i32_e64 s[74:75], v16, 3                          // 0000000047F8: D0C1004A 00010710
	v_cndmask_b32_e64 v82, v82, v31, s[72:73]                  // 000000004800: D1000052 01223F52
	v_cndmask_b32_e64 v83, v83, v31, s[74:75]                  // 000000004808: D1000053 012A3F53
	v_cmp_lt_i32_e64 s[72:73], v16, 8                          // 000000004810: D0C10048 00011110
	v_cmp_lt_i32_e64 s[74:75], v16, 9                          // 000000004818: D0C1004A 00011310
	v_cndmask_b32_e64 v84, v84, v31, s[72:73]                  // 000000004820: D1000054 01223F54
	v_cndmask_b32_e64 v85, v85, v31, s[74:75]                  // 000000004828: D1000055 012A3F55
	v_cmp_lt_i32_e64 s[72:73], v16, 10                         // 000000004830: D0C10048 00011510
	v_cmp_lt_i32_e64 s[74:75], v16, 11                         // 000000004838: D0C1004A 00011710
	v_cndmask_b32_e64 v86, v86, v31, s[72:73]                  // 000000004840: D1000056 01223F56
	v_cndmask_b32_e64 v87, v87, v31, s[74:75]                  // 000000004848: D1000057 012A3F57
	v_cmp_lt_i32_e64 s[72:73], v16, 16                         // 000000004850: D0C10048 00012110
	v_cmp_lt_i32_e64 s[74:75], v16, 17                         // 000000004858: D0C1004A 00012310
	v_cndmask_b32_e64 v88, v88, v31, s[72:73]                  // 000000004860: D1000058 01223F58
	v_cndmask_b32_e64 v89, v89, v31, s[74:75]                  // 000000004868: D1000059 012A3F59
	v_cmp_lt_i32_e64 s[72:73], v16, 18                         // 000000004870: D0C10048 00012510
	v_cmp_lt_i32_e64 s[74:75], v16, 19                         // 000000004878: D0C1004A 00012710
	v_cndmask_b32_e64 v90, v90, v31, s[72:73]                  // 000000004880: D100005A 01223F5A
	v_cndmask_b32_e64 v91, v91, v31, s[74:75]                  // 000000004888: D100005B 012A3F5B
	v_cmp_lt_i32_e64 s[72:73], v16, 24                         // 000000004890: D0C10048 00013110
	v_cmp_lt_i32_e64 s[74:75], v16, 25                         // 000000004898: D0C1004A 00013310
	v_cndmask_b32_e64 v92, v92, v31, s[72:73]                  // 0000000048A0: D100005C 01223F5C
	v_cndmask_b32_e64 v93, v93, v31, s[74:75]                  // 0000000048A8: D100005D 012A3F5D
	v_cmp_lt_i32_e64 s[72:73], v16, 26                         // 0000000048B0: D0C10048 00013510
	v_cmp_lt_i32_e64 s[74:75], v16, 27                         // 0000000048B8: D0C1004A 00013710
	v_cndmask_b32_e64 v94, v94, v31, s[72:73]                  // 0000000048C0: D100005E 01223F5E
	v_cndmask_b32_e64 v95, v95, v31, s[74:75]                  // 0000000048C8: D100005F 012A3F5F
	s_cmp_lt_i32 s52, s54                                      // 0000000048D0: BF043634
	s_cbranch_scc1 label_05B9                                  // 0000000048D4: BF850043
	s_sub_i32 s40, s7, s52                                     // 0000000048D8: 81A83407
	v_sub_i32 v16, s40, v30                                    // 0000000048DC: D29D0010 00023C28
	v_cmp_lt_i32_e64 s[72:73], 0, v16                          // 0000000048E4: D0C10048 00022080
	v_cmp_lt_i32_e64 s[74:75], 1, v16                          // 0000000048EC: D0C1004A 00022081
	v_cndmask_b32_e64 v80, v31, v80, s[72:73]                  // 0000000048F4: D1000050 0122A11F
	v_cndmask_b32_e64 v81, v31, v81, s[74:75]                  // 0000000048FC: D1000051 012AA31F
	v_cmp_lt_i32_e64 s[72:73], 2, v16                          // 000000004904: D0C10048 00022082
	v_cmp_lt_i32_e64 s[74:75], 3, v16                          // 00000000490C: D0C1004A 00022083
	v_cndmask_b32_e64 v82, v31, v82, s[72:73]                  // 000000004914: D1000052 0122A51F
	v_cndmask_b32_e64 v83, v31, v83, s[74:75]                  // 00000000491C: D1000053 012AA71F
	v_cmp_lt_i32_e64 s[72:73], 8, v16                          // 000000004924: D0C10048 00022088
	v_cmp_lt_i32_e64 s[74:75], 9, v16                          // 00000000492C: D0C1004A 00022089
	v_cndmask_b32_e64 v84, v31, v84, s[72:73]                  // 000000004934: D1000054 0122A91F
	v_cndmask_b32_e64 v85, v31, v85, s[74:75]                  // 00000000493C: D1000055 012AAB1F
	v_cmp_lt_i32_e64 s[72:73], 10, v16                         // 000000004944: D0C10048 0002208A
	v_cmp_lt_i32_e64 s[74:75], 11, v16                         // 00000000494C: D0C1004A 0002208B
	v_cndmask_b32_e64 v86, v31, v86, s[72:73]                  // 000000004954: D1000056 0122AD1F
	v_cndmask_b32_e64 v87, v31, v87, s[74:75]                  // 00000000495C: D1000057 012AAF1F
	v_cmp_lt_i32_e64 s[72:73], 16, v16                         // 000000004964: D0C10048 00022090
	v_cmp_lt_i32_e64 s[74:75], 17, v16                         // 00000000496C: D0C1004A 00022091
	v_cndmask_b32_e64 v88, v31, v88, s[72:73]                  // 000000004974: D1000058 0122B11F
	v_cndmask_b32_e64 v89, v31, v89, s[74:75]                  // 00000000497C: D1000059 012AB31F
	v_cmp_lt_i32_e64 s[72:73], 18, v16                         // 000000004984: D0C10048 00022092
	v_cmp_lt_i32_e64 s[74:75], 19, v16                         // 00000000498C: D0C1004A 00022093
	v_cndmask_b32_e64 v90, v31, v90, s[72:73]                  // 000000004994: D100005A 0122B51F
	v_cndmask_b32_e64 v91, v31, v91, s[74:75]                  // 00000000499C: D100005B 012AB71F
	v_cmp_lt_i32_e64 s[72:73], 24, v16                         // 0000000049A4: D0C10048 00022098
	v_cmp_lt_i32_e64 s[74:75], 25, v16                         // 0000000049AC: D0C1004A 00022099
	v_cndmask_b32_e64 v92, v31, v92, s[72:73]                  // 0000000049B4: D100005C 0122B91F
	v_cndmask_b32_e64 v93, v31, v93, s[74:75]                  // 0000000049BC: D100005D 012ABB1F
	v_cmp_lt_i32_e64 s[72:73], 26, v16                         // 0000000049C4: D0C10048 0002209A
	v_cmp_lt_i32_e64 s[74:75], 27, v16                         // 0000000049CC: D0C1004A 0002209B
	v_cndmask_b32_e64 v94, v31, v94, s[72:73]                  // 0000000049D4: D100005E 0122BD1F
	v_cndmask_b32_e64 v95, v31, v95, s[74:75]                  // 0000000049DC: D100005F 012ABF1F

00000000000049e4 <label_05B9>:
	s_waitcnt lgkmcnt(0)                                       // 0000000049E4: BF8CC07F
	s_barrier                                                  // 0000000049E8: BF8A0000
	v_mfma_f32_32x32x8_bf16 v[96:111], v[192:193], v[64:65], v[96:111]// 0000000049EC: D3E00060 058281C0
	v_max3_f32 v25, v80, v81, v28                              // 0000000049F4: D1D30019 0472A350
	v_max3_f32 v25, v82, v83, v25                              // 0000000049FC: D1D30019 0466A752
	v_max3_f32 v25, v84, v85, v25                              // 000000004A04: D1D30019 0466AB54
	v_max3_f32 v25, v86, v87, v25                              // 000000004A0C: D1D30019 0466AF56
	v_max3_f32 v25, v88, v89, v25                              // 000000004A14: D1D30019 0466B358
	v_max3_f32 v25, v90, v91, v25                              // 000000004A1C: D1D30019 0466B75A
	v_max3_f32 v25, v92, v93, v25                              // 000000004A24: D1D30019 0466BB5C
	v_mfma_f32_32x32x8_bf16 v[96:111], v[194:195], v[66:67], v[96:111]// 000000004A2C: D3E00060 058285C2
	v_max3_f32 v25, v94, v95, v25                              // 000000004A34: D1D30019 0466BF5E
	ds_permute_b32 v24, v32, v25                               // 000000004A3C: D87C0000 18001920
	v_mfma_f32_32x32x8_bf16 v[96:111], v[196:197], v[68:69], v[96:111]// 000000004A44: D3E00060 058289C4
	v_nop                                                      // 000000004A4C: 7E000000
	s_nop 0                                                    // 000000004A50: BF800000
	v_mfma_f32_32x32x8_bf16 v[96:111], v[198:199], v[70:71], v[96:111]// 000000004A54: D3E00060 05828DC6
	v_nop                                                      // 000000004A5C: 7E000000
	v_mfma_f32_32x32x8_bf16 v[112:127], v[200:201], v[64:65], v[112:127]// 000000004A60: D3E00070 05C281C8
	s_waitcnt lgkmcnt(0)                                       // 000000004A68: BF8CC07F
	v_max_f32_e32 v25, v24, v25                                // 000000004A6C: 16323318
	v_sub_f32_e32 v20, v28, v25                                // 000000004A70: 0428331C
	v_mov_b32_e32 v28, v25                                     // 000000004A74: 7E380319
	v_mul_f32_e32 v27, s56, v25                                // 000000004A78: 0A363238
	v_mul_f32_e32 v20, s56, v20                                // 000000004A7C: 0A282838
	v_mfma_f32_32x32x8_bf16 v[112:127], v[202:203], v[66:67], v[112:127]// 000000004A80: D3E00070 05C285CA
	v_exp_f32_e32 v20, v20                                     // 000000004A88: 7E284114
	v_fma_f32 v80, v80, s56, -v27                              // 000000004A8C: D1CB0050 846C7150
	v_fma_f32 v81, v81, s56, -v27                              // 000000004A94: D1CB0051 846C7151
	v_fma_f32 v82, v82, s56, -v27                              // 000000004A9C: D1CB0052 846C7152
	v_mfma_f32_32x32x8_bf16 v[112:127], v[204:205], v[68:69], v[112:127]// 000000004AA4: D3E00070 05C289CC
	v_fma_f32 v83, v83, s56, -v27                              // 000000004AAC: D1CB0053 846C7153
	v_fma_f32 v84, v84, s56, -v27                              // 000000004AB4: D1CB0054 846C7154
	v_fma_f32 v85, v85, s56, -v27                              // 000000004ABC: D1CB0055 846C7155
	v_fma_f32 v86, v86, s56, -v27                              // 000000004AC4: D1CB0056 846C7156
	v_fma_f32 v87, v87, s56, -v27                              // 000000004ACC: D1CB0057 846C7157
	v_fma_f32 v88, v88, s56, -v27                              // 000000004AD4: D1CB0058 846C7158
	v_fma_f32 v89, v89, s56, -v27                              // 000000004ADC: D1CB0059 846C7159
	v_mfma_f32_32x32x8_bf16 v[112:127], v[206:207], v[70:71], v[112:127]// 000000004AE4: D3E00070 05C28DCE
	v_fma_f32 v90, v90, s56, -v27                              // 000000004AEC: D1CB005A 846C715A
	v_fma_f32 v91, v91, s56, -v27                              // 000000004AF4: D1CB005B 846C715B
	v_fma_f32 v92, v92, s56, -v27                              // 000000004AFC: D1CB005C 846C715C
	v_fma_f32 v93, v93, s56, -v27                              // 000000004B04: D1CB005D 846C715D
	v_fma_f32 v94, v94, s56, -v27                              // 000000004B0C: D1CB005E 846C715E
	v_fma_f32 v95, v95, s56, -v27                              // 000000004B14: D1CB005F 846C715F
	v_exp_f32_e32 v80, v80                                     // 000000004B1C: 7EA04150
	v_mfma_f32_32x32x8_bf16 v[128:143], v[208:209], v[64:65], v[128:143]// 000000004B20: D3E00080 060281D0
	v_exp_f32_e32 v81, v81                                     // 000000004B28: 7EA24151
	v_exp_f32_e32 v82, v82                                     // 000000004B2C: 7EA44152
	v_mfma_f32_32x32x8_bf16 v[128:143], v[210:211], v[66:67], v[128:143]// 000000004B30: D3E00080 060285D2
	v_exp_f32_e32 v83, v83                                     // 000000004B38: 7EA64153
	v_exp_f32_e32 v84, v84                                     // 000000004B3C: 7EA84154
	v_mfma_f32_32x32x8_bf16 v[128:143], v[212:213], v[68:69], v[128:143]// 000000004B40: D3E00080 060289D4
	v_exp_f32_e32 v85, v85                                     // 000000004B48: 7EAA4155
	v_exp_f32_e32 v86, v86                                     // 000000004B4C: 7EAC4156
	v_mfma_f32_32x32x8_bf16 v[128:143], v[214:215], v[70:71], v[128:143]// 000000004B50: D3E00080 06028DD6
	v_exp_f32_e32 v87, v87                                     // 000000004B58: 7EAE4157
	v_exp_f32_e32 v88, v88                                     // 000000004B5C: 7EB04158
	v_mfma_f32_32x32x8_bf16 v[144:159], v[216:217], v[64:65], v[144:159]// 000000004B60: D3E00090 064281D8
	v_exp_f32_e32 v89, v89                                     // 000000004B68: 7EB24159
	v_exp_f32_e32 v90, v90                                     // 000000004B6C: 7EB4415A
	v_mfma_f32_32x32x8_bf16 v[144:159], v[218:219], v[66:67], v[144:159]// 000000004B70: D3E00090 064285DA
	v_exp_f32_e32 v91, v91                                     // 000000004B78: 7EB6415B
	v_exp_f32_e32 v92, v92                                     // 000000004B7C: 7EB8415C
	v_mfma_f32_32x32x8_bf16 v[144:159], v[220:221], v[68:69], v[144:159]// 000000004B80: D3E00090 064289DC
	v_exp_f32_e32 v93, v93                                     // 000000004B88: 7EBA415D
	v_exp_f32_e32 v94, v94                                     // 000000004B8C: 7EBC415E
	v_mfma_f32_32x32x8_bf16 v[144:159], v[222:223], v[70:71], v[144:159]// 000000004B90: D3E00090 06428DDE
	s_waitcnt vmcnt(8)                                         // 000000004B98: BF8C0F78
	s_barrier                                                  // 000000004B9C: BF8A0000
	s_nop 11                                                   // 000000004BA0: BF80000B
	s_nop 11                                                   // 000000004BA4: BF80000B
	ds_read_b128 v[192:195], v12                               // 000000004BA8: D9FE0000 C000000C
	ds_read_b128 v[196:199], v12 offset:32                     // 000000004BB0: D9FE0020 C400000C
	ds_read_b128 v[200:203], v12 offset:64                     // 000000004BB8: D9FE0040 C800000C
	ds_read_b128 v[204:207], v12 offset:96                     // 000000004BC0: D9FE0060 CC00000C
	s_nop 15                                                   // 000000004BC8: BF80000F
	s_nop 15                                                   // 000000004BCC: BF80000F
	s_nop 10                                                   // 000000004BD0: BF80000A
	buffer_load_dword v224, v8, s[16:19], s35 offen            // 000000004BD4: E0501000 2304E008
	ds_read_b128 v[208:211], v12 offset:128                    // 000000004BDC: D9FE0080 D000000C
	ds_read_b128 v[212:215], v12 offset:160                    // 000000004BE4: D9FE00A0 D400000C
	buffer_load_dword v225, v9, s[16:19], s35 offen            // 000000004BEC: E0501000 2304E109
	ds_read_b128 v[216:219], v12 offset:192                    // 000000004BF4: D9FE00C0 D800000C
	ds_read_b128 v[220:223], v12 offset:224                    // 000000004BFC: D9FE00E0 DC00000C
	buffer_load_dword v226, v10, s[16:19], s35 offen           // 000000004C04: E0501000 2304E20A
	buffer_load_dword v227, v11, s[16:19], s35 offen           // 000000004C0C: E0501000 2304E30B
	s_add_i32 s35, s44, s35                                    // 000000004C14: 8123232C
	s_add_u32 s40, 0x60, s39                                   // 000000004C18: 802827FF 00000060
	s_nop 0                                                    // 000000004C20: BF800000
	s_cmp_lt_u32 s40, s38                                      // 000000004C24: BF0A2628
	s_cselect_b32 s44, s44, 0                                  // 000000004C28: 852C802C
	s_add_i32 s52, s52, s53                                    // 000000004C2C: 81343534
	s_addk_i32 s39, 0x20                                       // 000000004C30: B7270020
	s_cmp_lt_i32 s39, s38                                      // 000000004C34: BF042627
	s_nop 0                                                    // 000000004C38: BF800000
	s_cbranch_scc0 label_0D3A                                  // 000000004C3C: BF8406EA
	s_waitcnt lgkmcnt(0)                                       // 000000004C40: BF8CC07F
	v_mfma_f32_32x32x8_bf16 v[64:79], v[192:193], v[160:161], 0// 000000004C44: D3E00040 020341C0
	v_exp_f32_e32 v95, v95                                     // 000000004C4C: 7EBE415F
	v_mul_f32_e32 v22, v20, v22                                // 000000004C50: 0A2C2D14
	v_add_f32_e32 v38, v81, v80                                // 000000004C54: 024CA151
	v_add_f32_e32 v38, v82, v38                                // 000000004C58: 024C4D52
	v_mfma_f32_32x32x8_bf16 v[64:79], v[194:195], v[162:163], v[64:79]// 000000004C5C: D3E00040 050345C2
	v_add_f32_e32 v38, v83, v38                                // 000000004C64: 024C4D53
	v_add_f32_e32 v38, v84, v38                                // 000000004C68: 024C4D54
	v_add_f32_e32 v38, v85, v38                                // 000000004C6C: 024C4D55
	v_add_f32_e32 v38, v86, v38                                // 000000004C70: 024C4D56
	v_add_f32_e32 v38, v87, v38                                // 000000004C74: 024C4D57
	v_add_f32_e32 v38, v88, v38                                // 000000004C78: 024C4D58
	v_add_f32_e32 v38, v89, v38                                // 000000004C7C: 024C4D59
	v_mfma_f32_32x32x8_bf16 v[64:79], v[196:197], v[164:165], v[64:79]// 000000004C80: D3E00040 050349C4
	v_add_f32_e32 v38, v90, v38                                // 000000004C88: 024C4D5A
	v_add_f32_e32 v38, v91, v38                                // 000000004C8C: 024C4D5B
	v_add_f32_e32 v38, v92, v38                                // 000000004C90: 024C4D5C
	v_add_f32_e32 v38, v93, v38                                // 000000004C94: 024C4D5D
	v_add_f32_e32 v38, v94, v38                                // 000000004C98: 024C4D5E
	v_add_f32_e32 v38, v95, v38                                // 000000004C9C: 024C4D5F
	v_add_f32_e32 v22, v38, v22                                // 000000004CA0: 022C2D26
	v_mfma_f32_32x32x8_bf16 v[64:79], v[198:199], v[166:167], v[64:79]// 000000004CA4: D3E00040 05034DC6
	v_mul_f32_e32 v96, v20, v96                                // 000000004CAC: 0AC0C114
	v_mul_f32_e32 v97, v20, v97                                // 000000004CB0: 0AC2C314
	v_mul_f32_e32 v98, v20, v98                                // 000000004CB4: 0AC4C514
	v_mul_f32_e32 v99, v20, v99                                // 000000004CB8: 0AC6C714
	v_mul_f32_e32 v100, v20, v100                              // 000000004CBC: 0AC8C914
	v_mul_f32_e32 v101, v20, v101                              // 000000004CC0: 0ACACB14
	v_mul_f32_e32 v102, v20, v102                              // 000000004CC4: 0ACCCD14
	v_mfma_f32_32x32x8_bf16 v[64:79], v[200:201], v[168:169], v[64:79]// 000000004CC8: D3E00040 050351C8
	v_mul_f32_e32 v103, v20, v103                              // 000000004CD0: 0ACECF14
	v_mul_f32_e32 v104, v20, v104                              // 000000004CD4: 0AD0D114
	v_mul_f32_e32 v105, v20, v105                              // 000000004CD8: 0AD2D314
	v_mul_f32_e32 v106, v20, v106                              // 000000004CDC: 0AD4D514
	v_mul_f32_e32 v107, v20, v107                              // 000000004CE0: 0AD6D714
	v_mul_f32_e32 v108, v20, v108                              // 000000004CE4: 0AD8D914
	v_mul_f32_e32 v109, v20, v109                              // 000000004CE8: 0ADADB14
	v_mfma_f32_32x32x8_bf16 v[64:79], v[202:203], v[170:171], v[64:79]// 000000004CEC: D3E00040 050355CA
	v_mul_f32_e32 v110, v20, v110                              // 000000004CF4: 0ADCDD14
	v_mul_f32_e32 v111, v20, v111                              // 000000004CF8: 0ADEDF14
	v_mul_f32_e32 v112, v20, v112                              // 000000004CFC: 0AE0E114
	v_mul_f32_e32 v113, v20, v113                              // 000000004D00: 0AE2E314
	v_mul_f32_e32 v114, v20, v114                              // 000000004D04: 0AE4E514
	v_mul_f32_e32 v115, v20, v115                              // 000000004D08: 0AE6E714
	v_mul_f32_e32 v116, v20, v116                              // 000000004D0C: 0AE8E914
	v_mfma_f32_32x32x8_bf16 v[64:79], v[204:205], v[172:173], v[64:79]// 000000004D10: D3E00040 050359CC
	v_mul_f32_e32 v117, v20, v117                              // 000000004D18: 0AEAEB14
	v_mul_f32_e32 v118, v20, v118                              // 000000004D1C: 0AECED14
	v_mul_f32_e32 v119, v20, v119                              // 000000004D20: 0AEEEF14
	v_mul_f32_e32 v120, v20, v120                              // 000000004D24: 0AF0F114
	v_mul_f32_e32 v121, v20, v121                              // 000000004D28: 0AF2F314
	v_mul_f32_e32 v122, v20, v122                              // 000000004D2C: 0AF4F514
	v_mul_f32_e32 v123, v20, v123                              // 000000004D30: 0AF6F714
	v_mfma_f32_32x32x8_bf16 v[64:79], v[206:207], v[174:175], v[64:79]// 000000004D34: D3E00040 05035DCE
	v_mul_f32_e32 v124, v20, v124                              // 000000004D3C: 0AF8F914
	v_mul_f32_e32 v125, v20, v125                              // 000000004D40: 0AFAFB14
	v_mul_f32_e32 v126, v20, v126                              // 000000004D44: 0AFCFD14
	v_mul_f32_e32 v127, v20, v127                              // 000000004D48: 0AFEFF14
	v_mul_f32_e32 v128, v20, v128                              // 000000004D4C: 0B010114
	v_mul_f32_e32 v129, v20, v129                              // 000000004D50: 0B030314
	v_mul_f32_e32 v130, v20, v130                              // 000000004D54: 0B050514
	v_mfma_f32_32x32x8_bf16 v[64:79], v[208:209], v[176:177], v[64:79]// 000000004D58: D3E00040 050361D0
	v_mul_f32_e32 v131, v20, v131                              // 000000004D60: 0B070714
	v_mul_f32_e32 v132, v20, v132                              // 000000004D64: 0B090914
	v_mul_f32_e32 v133, v20, v133                              // 000000004D68: 0B0B0B14
	v_mul_f32_e32 v134, v20, v134                              // 000000004D6C: 0B0D0D14
	v_mul_f32_e32 v135, v20, v135                              // 000000004D70: 0B0F0F14
	v_mul_f32_e32 v136, v20, v136                              // 000000004D74: 0B111114
	v_mul_f32_e32 v137, v20, v137                              // 000000004D78: 0B131314
	v_mfma_f32_32x32x8_bf16 v[64:79], v[210:211], v[178:179], v[64:79]// 000000004D7C: D3E00040 050365D2
	v_mul_f32_e32 v138, v20, v138                              // 000000004D84: 0B151514
	v_mul_f32_e32 v139, v20, v139                              // 000000004D88: 0B171714
	v_mul_f32_e32 v140, v20, v140                              // 000000004D8C: 0B191914
	v_mul_f32_e32 v141, v20, v141                              // 000000004D90: 0B1B1B14
	v_mul_f32_e32 v142, v20, v142                              // 000000004D94: 0B1D1D14
	v_mul_f32_e32 v143, v20, v143                              // 000000004D98: 0B1F1F14
	v_mul_f32_e32 v144, v20, v144                              // 000000004D9C: 0B212114
	v_mfma_f32_32x32x8_bf16 v[64:79], v[212:213], v[180:181], v[64:79]// 000000004DA0: D3E00040 050369D4
	v_mul_f32_e32 v145, v20, v145                              // 000000004DA8: 0B232314
	v_mul_f32_e32 v146, v20, v146                              // 000000004DAC: 0B252514
	v_mul_f32_e32 v147, v20, v147                              // 000000004DB0: 0B272714
	v_mul_f32_e32 v148, v20, v148                              // 000000004DB4: 0B292914
	v_mul_f32_e32 v149, v20, v149                              // 000000004DB8: 0B2B2B14
	v_mul_f32_e32 v150, v20, v150                              // 000000004DBC: 0B2D2D14
	v_mul_f32_e32 v151, v20, v151                              // 000000004DC0: 0B2F2F14
	v_mfma_f32_32x32x8_bf16 v[64:79], v[214:215], v[182:183], v[64:79]// 000000004DC4: D3E00040 05036DD6
	s_waitcnt vmcnt(8)                                         // 000000004DCC: BF8C0F78
	s_barrier                                                  // 000000004DD0: BF8A0000
	v_mfma_f32_32x32x8_bf16 v[64:79], v[216:217], v[184:185], v[64:79]// 000000004DD4: D3E00040 050371D8
	v_mul_f32_e32 v152, v20, v152                              // 000000004DDC: 0B313114
	v_mul_f32_e32 v153, v20, v153                              // 000000004DE0: 0B333314
	v_mul_f32_e32 v154, v20, v154                              // 000000004DE4: 0B353514
	v_mul_f32_e32 v155, v20, v155                              // 000000004DE8: 0B373714
	v_mul_f32_e32 v156, v20, v156                              // 000000004DEC: 0B393914
	v_mul_f32_e32 v157, v20, v157                              // 000000004DF0: 0B3B3B14
	v_mul_f32_e32 v158, v20, v158                              // 000000004DF4: 0B3D3D14
	v_mfma_f32_32x32x8_bf16 v[64:79], v[218:219], v[186:187], v[64:79]// 000000004DF8: D3E00040 050375DA
	v_mul_f32_e32 v159, v20, v159                              // 000000004E00: 0B3F3F14
	v_cmp_u_f32_e64 s[70:71], v80, v80                         // 000000004E04: D0480046 0002A150
	v_add3_u32 v40, v80, v43, 1                                // 000000004E0C: D1FF0028 02065750
	v_cndmask_b32_e64 v16, v40, v42, s[70:71]                  // 000000004E14: D1000010 011A5528
	v_cmp_u_f32_e64 s[70:71], v81, v81                         // 000000004E1C: D0480046 0002A351
	v_add3_u32 v40, v81, v43, 1                                // 000000004E24: D1FF0028 02065751
	v_cndmask_b32_e64 v17, v40, v42, s[70:71]                  // 000000004E2C: D1000011 011A5528
	v_perm_b32 v80, v17, v16, s49                              // 000000004E34: D1ED0050 00C62111
	v_cmp_u_f32_e64 s[70:71], v82, v82                         // 000000004E3C: D0480046 0002A552
	v_add3_u32 v40, v82, v43, 1                                // 000000004E44: D1FF0028 02065752
	v_cndmask_b32_e64 v16, v40, v42, s[70:71]                  // 000000004E4C: D1000010 011A5528
	v_cmp_u_f32_e64 s[70:71], v83, v83                         // 000000004E54: D0480046 0002A753
	v_add3_u32 v40, v83, v43, 1                                // 000000004E5C: D1FF0028 02065753
	v_cndmask_b32_e64 v17, v40, v42, s[70:71]                  // 000000004E64: D1000011 011A5528
	v_perm_b32 v81, v17, v16, s49                              // 000000004E6C: D1ED0051 00C62111
	v_cmp_u_f32_e64 s[70:71], v84, v84                         // 000000004E74: D0480046 0002A954
	v_add3_u32 v40, v84, v43, 1                                // 000000004E7C: D1FF0028 02065754
	v_cndmask_b32_e64 v16, v40, v42, s[70:71]                  // 000000004E84: D1000010 011A5528
	v_cmp_u_f32_e64 s[70:71], v85, v85                         // 000000004E8C: D0480046 0002AB55
	v_add3_u32 v40, v85, v43, 1                                // 000000004E94: D1FF0028 02065755
	v_cndmask_b32_e64 v17, v40, v42, s[70:71]                  // 000000004E9C: D1000011 011A5528
	v_perm_b32 v82, v17, v16, s49                              // 000000004EA4: D1ED0052 00C62111
	v_mfma_f32_32x32x8_bf16 v[64:79], v[220:221], v[188:189], v[64:79]// 000000004EAC: D3E00040 050379DC
	v_cmp_u_f32_e64 s[70:71], v86, v86                         // 000000004EB4: D0480046 0002AD56
	v_add3_u32 v40, v86, v43, 1                                // 000000004EBC: D1FF0028 02065756
	v_cndmask_b32_e64 v16, v40, v42, s[70:71]                  // 000000004EC4: D1000010 011A5528
	v_cmp_u_f32_e64 s[70:71], v87, v87                         // 000000004ECC: D0480046 0002AF57
	v_add3_u32 v40, v87, v43, 1                                // 000000004ED4: D1FF0028 02065757
	v_cndmask_b32_e64 v17, v40, v42, s[70:71]                  // 000000004EDC: D1000011 011A5528
	v_perm_b32 v83, v17, v16, s49                              // 000000004EE4: D1ED0053 00C62111
	v_cmp_u_f32_e64 s[70:71], v88, v88                         // 000000004EEC: D0480046 0002B158
	v_add3_u32 v40, v88, v43, 1                                // 000000004EF4: D1FF0028 02065758
	v_cndmask_b32_e64 v16, v40, v42, s[70:71]                  // 000000004EFC: D1000010 011A5528
	v_cmp_u_f32_e64 s[70:71], v89, v89                         // 000000004F04: D0480046 0002B359
	v_add3_u32 v40, v89, v43, 1                                // 000000004F0C: D1FF0028 02065759
	v_cndmask_b32_e64 v17, v40, v42, s[70:71]                  // 000000004F14: D1000011 011A5528
	v_perm_b32 v84, v17, v16, s49                              // 000000004F1C: D1ED0054 00C62111
	v_cmp_u_f32_e64 s[70:71], v90, v90                         // 000000004F24: D0480046 0002B55A
	v_add3_u32 v40, v90, v43, 1                                // 000000004F2C: D1FF0028 0206575A
	v_cndmask_b32_e64 v16, v40, v42, s[70:71]                  // 000000004F34: D1000010 011A5528
	v_cmp_u_f32_e64 s[70:71], v91, v91                         // 000000004F3C: D0480046 0002B75B
	v_add3_u32 v40, v91, v43, 1                                // 000000004F44: D1FF0028 0206575B
	v_cndmask_b32_e64 v17, v40, v42, s[70:71]                  // 000000004F4C: D1000011 011A5528
	v_perm_b32 v85, v17, v16, s49                              // 000000004F54: D1ED0055 00C62111
	v_cmp_u_f32_e64 s[70:71], v92, v92                         // 000000004F5C: D0480046 0002B95C
	v_add3_u32 v40, v92, v43, 1                                // 000000004F64: D1FF0028 0206575C
	v_cndmask_b32_e64 v16, v40, v42, s[70:71]                  // 000000004F6C: D1000010 011A5528
	v_cmp_u_f32_e64 s[70:71], v93, v93                         // 000000004F74: D0480046 0002BB5D
	v_add3_u32 v40, v93, v43, 1                                // 000000004F7C: D1FF0028 0206575D
	v_cndmask_b32_e64 v17, v40, v42, s[70:71]                  // 000000004F84: D1000011 011A5528
	v_perm_b32 v86, v17, v16, s49                              // 000000004F8C: D1ED0056 00C62111
	v_cmp_u_f32_e64 s[70:71], v94, v94                         // 000000004F94: D0480046 0002BD5E
	v_add3_u32 v40, v94, v43, 1                                // 000000004F9C: D1FF0028 0206575E
	v_cndmask_b32_e64 v16, v40, v42, s[70:71]                  // 000000004FA4: D1000010 011A5528
	v_cmp_u_f32_e64 s[70:71], v95, v95                         // 000000004FAC: D0480046 0002BF5F
	v_add3_u32 v40, v95, v43, 1                                // 000000004FB4: D1FF0028 0206575F
	v_cndmask_b32_e64 v17, v40, v42, s[70:71]                  // 000000004FBC: D1000011 011A5528
	v_perm_b32 v87, v17, v16, s49                              // 000000004FC4: D1ED0057 00C62111
	v_mfma_f32_32x32x8_bf16 v[64:79], v[222:223], v[190:191], v[64:79]// 000000004FCC: D3E00040 05037DDE
	v_perm_b32 v232, v229, v228, s50                           // 000000004FD4: D1ED00E8 00CBC9E5
	v_perm_b32 v234, v229, v228, s49                           // 000000004FDC: D1ED00EA 00C7C9E5
	v_perm_b32 v233, v231, v230, s50                           // 000000004FE4: D1ED00E9 00CBCDE7
	v_perm_b32 v235, v231, v230, s49                           // 000000004FEC: D1ED00EB 00C7CDE7
	s_barrier                                                  // 000000004FF4: BF8A0000
	ds_write_b64 v14, v[232:233] offset:17408                  // 000000004FF8: D89A4400 0000E80E
	ds_write_b64 v14, v[234:235] offset:21568                  // 000000005000: D89A5440 0000EA0E
	s_waitcnt lgkmcnt(0)                                       // 000000005008: BF8CC07F
	s_barrier                                                  // 00000000500C: BF8A0000
	s_mov_b32 m0, s68                                          // 000000005010: BEFC0044
	ds_read_b64 v[192:193], v13 offset:17408                   // 000000005014: D8EC4400 C000000D
	ds_read_b64 v[194:195], v13 offset:18432                   // 00000000501C: D8EC4800 C200000D
	ds_read_b64 v[196:197], v13 offset:19456                   // 000000005024: D8EC4C00 C400000D
	ds_read_b64 v[198:199], v13 offset:20480                   // 00000000502C: D8EC5000 C600000D
	buffer_load_dword v4, s[12:15], s60 offen lds              // 000000005034: E0511000 3C030004
	s_add_u32 m0, 0x880, m0                                    // 00000000503C: 807C7CFF 00000880
	ds_read_b64 v[200:201], v13 offset:17536                   // 000000005044: D8EC4480 C800000D
	ds_read_b64 v[202:203], v13 offset:18560                   // 00000000504C: D8EC4880 CA00000D
	ds_read_b64 v[204:205], v13 offset:19584                   // 000000005054: D8EC4C80 CC00000D
	ds_read_b64 v[206:207], v13 offset:20608                   // 00000000505C: D8EC5080 CE00000D
	buffer_load_dword v5, s[12:15], s60 offen lds              // 000000005064: E0511000 3C030005
	s_add_u32 m0, 0x880, m0                                    // 00000000506C: 807C7CFF 00000880
	ds_read_b64 v[208:209], v13 offset:17664                   // 000000005074: D8EC4500 D000000D
	ds_read_b64 v[210:211], v13 offset:18688                   // 00000000507C: D8EC4900 D200000D
	ds_read_b64 v[212:213], v13 offset:19712                   // 000000005084: D8EC4D00 D400000D
	ds_read_b64 v[214:215], v13 offset:20736                   // 00000000508C: D8EC5100 D600000D
	buffer_load_dword v6, s[12:15], s60 offen lds              // 000000005094: E0511000 3C030006
	s_add_u32 m0, 0x880, m0                                    // 00000000509C: 807C7CFF 00000880
	ds_read_b64 v[216:217], v13 offset:17792                   // 0000000050A4: D8EC4580 D800000D
	ds_read_b64 v[218:219], v13 offset:18816                   // 0000000050AC: D8EC4980 DA00000D
	ds_read_b64 v[220:221], v13 offset:19840                   // 0000000050B4: D8EC4D80 DC00000D
	ds_read_b64 v[222:223], v13 offset:20864                   // 0000000050BC: D8EC5180 DE00000D
	buffer_load_dword v7, s[12:15], s60 offen lds              // 0000000050C4: E0511000 3C030007
	s_add_u32 m0, 0x880, m0                                    // 0000000050CC: 807C7CFF 00000880
	s_add_i32 s60, s43, s60                                    // 0000000050D4: 813C3C2B
	s_add_u32 s40, 0x80, s39                                   // 0000000050D8: 802827FF 00000080
	s_cmp_lt_u32 s40, s38                                      // 0000000050E0: BF0A2628
	s_cselect_b32 s43, s43, 0                                  // 0000000050E4: 852B802B
	s_nop 0                                                    // 0000000050E8: BF800000
	s_cmp_lt_i32 s52, s51                                      // 0000000050EC: BF043334
	s_cbranch_scc1 label_0808                                  // 0000000050F0: BF85008B
	s_sub_i32 s40, s51, s52                                    // 0000000050F4: 81A83433
	s_sub_i32 s41, s7, s30                                     // 0000000050F8: 81A91E07
	s_and_b32 s41, s41, 31                                     // 0000000050FC: 86299F29
	s_add_i32 s40, s40, s41                                    // 000000005100: 81282928
	v_add_i32 v16, v29, s40                                    // 000000005104: D29C0010 0000511D
	v_cmp_lt_i32_e64 s[72:73], v16, 0                          // 00000000510C: D0C10048 00010110
	v_cmp_lt_i32_e64 s[74:75], v16, 1                          // 000000005114: D0C1004A 00010310
	v_cndmask_b32_e64 v64, v64, v31, s[72:73]                  // 00000000511C: D1000040 01223F40
	v_cndmask_b32_e64 v65, v65, v31, s[74:75]                  // 000000005124: D1000041 012A3F41
	v_cmp_lt_i32_e64 s[72:73], v16, 2                          // 00000000512C: D0C10048 00010510
	v_cmp_lt_i32_e64 s[74:75], v16, 3                          // 000000005134: D0C1004A 00010710
	v_cndmask_b32_e64 v66, v66, v31, s[72:73]                  // 00000000513C: D1000042 01223F42
	v_cndmask_b32_e64 v67, v67, v31, s[74:75]                  // 000000005144: D1000043 012A3F43
	v_cmp_lt_i32_e64 s[72:73], v16, 8                          // 00000000514C: D0C10048 00011110
	v_cmp_lt_i32_e64 s[74:75], v16, 9                          // 000000005154: D0C1004A 00011310
	v_cndmask_b32_e64 v68, v68, v31, s[72:73]                  // 00000000515C: D1000044 01223F44
	v_cndmask_b32_e64 v69, v69, v31, s[74:75]                  // 000000005164: D1000045 012A3F45
	v_cmp_lt_i32_e64 s[72:73], v16, 10                         // 00000000516C: D0C10048 00011510
	v_cmp_lt_i32_e64 s[74:75], v16, 11                         // 000000005174: D0C1004A 00011710
	v_cndmask_b32_e64 v70, v70, v31, s[72:73]                  // 00000000517C: D1000046 01223F46
	v_cndmask_b32_e64 v71, v71, v31, s[74:75]                  // 000000005184: D1000047 012A3F47
	v_cmp_lt_i32_e64 s[72:73], v16, 16                         // 00000000518C: D0C10048 00012110
	v_cmp_lt_i32_e64 s[74:75], v16, 17                         // 000000005194: D0C1004A 00012310
	v_cndmask_b32_e64 v72, v72, v31, s[72:73]                  // 00000000519C: D1000048 01223F48
	v_cndmask_b32_e64 v73, v73, v31, s[74:75]                  // 0000000051A4: D1000049 012A3F49
	v_cmp_lt_i32_e64 s[72:73], v16, 18                         // 0000000051AC: D0C10048 00012510
	v_cmp_lt_i32_e64 s[74:75], v16, 19                         // 0000000051B4: D0C1004A 00012710
	v_cndmask_b32_e64 v74, v74, v31, s[72:73]                  // 0000000051BC: D100004A 01223F4A
	v_cndmask_b32_e64 v75, v75, v31, s[74:75]                  // 0000000051C4: D100004B 012A3F4B
	v_cmp_lt_i32_e64 s[72:73], v16, 24                         // 0000000051CC: D0C10048 00013110
	v_cmp_lt_i32_e64 s[74:75], v16, 25                         // 0000000051D4: D0C1004A 00013310
	v_cndmask_b32_e64 v76, v76, v31, s[72:73]                  // 0000000051DC: D100004C 01223F4C
	v_cndmask_b32_e64 v77, v77, v31, s[74:75]                  // 0000000051E4: D100004D 012A3F4D
	v_cmp_lt_i32_e64 s[72:73], v16, 26                         // 0000000051EC: D0C10048 00013510
	v_cmp_lt_i32_e64 s[74:75], v16, 27                         // 0000000051F4: D0C1004A 00013710
	v_cndmask_b32_e64 v78, v78, v31, s[72:73]                  // 0000000051FC: D100004E 01223F4E
	v_cndmask_b32_e64 v79, v79, v31, s[74:75]                  // 000000005204: D100004F 012A3F4F
	s_cmp_lt_i32 s52, s54                                      // 00000000520C: BF043634
	s_cbranch_scc1 label_0808                                  // 000000005210: BF850043
	s_sub_i32 s40, s7, s52                                     // 000000005214: 81A83407
	v_sub_i32 v16, s40, v30                                    // 000000005218: D29D0010 00023C28
	v_cmp_lt_i32_e64 s[72:73], 0, v16                          // 000000005220: D0C10048 00022080
	v_cmp_lt_i32_e64 s[74:75], 1, v16                          // 000000005228: D0C1004A 00022081
	v_cndmask_b32_e64 v64, v31, v64, s[72:73]                  // 000000005230: D1000040 0122811F
	v_cndmask_b32_e64 v65, v31, v65, s[74:75]                  // 000000005238: D1000041 012A831F
	v_cmp_lt_i32_e64 s[72:73], 2, v16                          // 000000005240: D0C10048 00022082
	v_cmp_lt_i32_e64 s[74:75], 3, v16                          // 000000005248: D0C1004A 00022083
	v_cndmask_b32_e64 v66, v31, v66, s[72:73]                  // 000000005250: D1000042 0122851F
	v_cndmask_b32_e64 v67, v31, v67, s[74:75]                  // 000000005258: D1000043 012A871F
	v_cmp_lt_i32_e64 s[72:73], 8, v16                          // 000000005260: D0C10048 00022088
	v_cmp_lt_i32_e64 s[74:75], 9, v16                          // 000000005268: D0C1004A 00022089
	v_cndmask_b32_e64 v68, v31, v68, s[72:73]                  // 000000005270: D1000044 0122891F
	v_cndmask_b32_e64 v69, v31, v69, s[74:75]                  // 000000005278: D1000045 012A8B1F
	v_cmp_lt_i32_e64 s[72:73], 10, v16                         // 000000005280: D0C10048 0002208A
	v_cmp_lt_i32_e64 s[74:75], 11, v16                         // 000000005288: D0C1004A 0002208B
	v_cndmask_b32_e64 v70, v31, v70, s[72:73]                  // 000000005290: D1000046 01228D1F
	v_cndmask_b32_e64 v71, v31, v71, s[74:75]                  // 000000005298: D1000047 012A8F1F
	v_cmp_lt_i32_e64 s[72:73], 16, v16                         // 0000000052A0: D0C10048 00022090
	v_cmp_lt_i32_e64 s[74:75], 17, v16                         // 0000000052A8: D0C1004A 00022091
	v_cndmask_b32_e64 v72, v31, v72, s[72:73]                  // 0000000052B0: D1000048 0122911F
	v_cndmask_b32_e64 v73, v31, v73, s[74:75]                  // 0000000052B8: D1000049 012A931F
	v_cmp_lt_i32_e64 s[72:73], 18, v16                         // 0000000052C0: D0C10048 00022092
	v_cmp_lt_i32_e64 s[74:75], 19, v16                         // 0000000052C8: D0C1004A 00022093
	v_cndmask_b32_e64 v74, v31, v74, s[72:73]                  // 0000000052D0: D100004A 0122951F
	v_cndmask_b32_e64 v75, v31, v75, s[74:75]                  // 0000000052D8: D100004B 012A971F
	v_cmp_lt_i32_e64 s[72:73], 24, v16                         // 0000000052E0: D0C10048 00022098
	v_cmp_lt_i32_e64 s[74:75], 25, v16                         // 0000000052E8: D0C1004A 00022099
	v_cndmask_b32_e64 v76, v31, v76, s[72:73]                  // 0000000052F0: D100004C 0122991F
	v_cndmask_b32_e64 v77, v31, v77, s[74:75]                  // 0000000052F8: D100004D 012A9B1F
	v_cmp_lt_i32_e64 s[72:73], 26, v16                         // 000000005300: D0C10048 0002209A
	v_cmp_lt_i32_e64 s[74:75], 27, v16                         // 000000005308: D0C1004A 0002209B
	v_cndmask_b32_e64 v78, v31, v78, s[72:73]                  // 000000005310: D100004E 01229D1F
	v_cndmask_b32_e64 v79, v31, v79, s[74:75]                  // 000000005318: D100004F 012A9F1F

0000000000005320 <label_0808>:
	s_waitcnt lgkmcnt(0)                                       // 000000005320: BF8CC07F
	s_barrier                                                  // 000000005324: BF8A0000
	v_mfma_f32_32x32x8_bf16 v[96:111], v[192:193], v[80:81], v[96:111]// 000000005328: D3E00060 0582A1C0
	v_max3_f32 v25, v64, v65, v28                              // 000000005330: D1D30019 04728340
	v_max3_f32 v25, v66, v67, v25                              // 000000005338: D1D30019 04668742
	v_max3_f32 v25, v68, v69, v25                              // 000000005340: D1D30019 04668B44
	v_max3_f32 v25, v70, v71, v25                              // 000000005348: D1D30019 04668F46
	v_max3_f32 v25, v72, v73, v25                              // 000000005350: D1D30019 04669348
	v_max3_f32 v25, v74, v75, v25                              // 000000005358: D1D30019 0466974A
	v_max3_f32 v25, v76, v77, v25                              // 000000005360: D1D30019 04669B4C
	v_mfma_f32_32x32x8_bf16 v[96:111], v[194:195], v[82:83], v[96:111]// 000000005368: D3E00060 0582A5C2
	v_max3_f32 v25, v78, v79, v25                              // 000000005370: D1D30019 04669F4E
	ds_permute_b32 v24, v32, v25                               // 000000005378: D87C0000 18001920
	v_mfma_f32_32x32x8_bf16 v[96:111], v[196:197], v[84:85], v[96:111]// 000000005380: D3E00060 0582A9C4
	v_nop                                                      // 000000005388: 7E000000
	s_nop 0                                                    // 00000000538C: BF800000
	v_mfma_f32_32x32x8_bf16 v[96:111], v[198:199], v[86:87], v[96:111]// 000000005390: D3E00060 0582ADC6
	v_nop                                                      // 000000005398: 7E000000
	v_mfma_f32_32x32x8_bf16 v[112:127], v[200:201], v[80:81], v[112:127]// 00000000539C: D3E00070 05C2A1C8
	s_waitcnt lgkmcnt(0)                                       // 0000000053A4: BF8CC07F
	v_max_f32_e32 v25, v24, v25                                // 0000000053A8: 16323318
	v_sub_f32_e32 v20, v28, v25                                // 0000000053AC: 0428331C
	v_mov_b32_e32 v28, v25                                     // 0000000053B0: 7E380319
	v_mul_f32_e32 v27, s56, v25                                // 0000000053B4: 0A363238
	v_mul_f32_e32 v20, s56, v20                                // 0000000053B8: 0A282838
	v_mfma_f32_32x32x8_bf16 v[112:127], v[202:203], v[82:83], v[112:127]// 0000000053BC: D3E00070 05C2A5CA
	v_exp_f32_e32 v20, v20                                     // 0000000053C4: 7E284114
	v_fma_f32 v64, v64, s56, -v27                              // 0000000053C8: D1CB0040 846C7140
	v_fma_f32 v65, v65, s56, -v27                              // 0000000053D0: D1CB0041 846C7141
	v_fma_f32 v66, v66, s56, -v27                              // 0000000053D8: D1CB0042 846C7142
	v_mfma_f32_32x32x8_bf16 v[112:127], v[204:205], v[84:85], v[112:127]// 0000000053E0: D3E00070 05C2A9CC
	v_fma_f32 v67, v67, s56, -v27                              // 0000000053E8: D1CB0043 846C7143
	v_fma_f32 v68, v68, s56, -v27                              // 0000000053F0: D1CB0044 846C7144
	v_fma_f32 v69, v69, s56, -v27                              // 0000000053F8: D1CB0045 846C7145
	v_fma_f32 v70, v70, s56, -v27                              // 000000005400: D1CB0046 846C7146
	v_fma_f32 v71, v71, s56, -v27                              // 000000005408: D1CB0047 846C7147
	v_fma_f32 v72, v72, s56, -v27                              // 000000005410: D1CB0048 846C7148
	v_fma_f32 v73, v73, s56, -v27                              // 000000005418: D1CB0049 846C7149
	v_mfma_f32_32x32x8_bf16 v[112:127], v[206:207], v[86:87], v[112:127]// 000000005420: D3E00070 05C2ADCE
	v_fma_f32 v74, v74, s56, -v27                              // 000000005428: D1CB004A 846C714A
	v_fma_f32 v75, v75, s56, -v27                              // 000000005430: D1CB004B 846C714B
	v_fma_f32 v76, v76, s56, -v27                              // 000000005438: D1CB004C 846C714C
	v_fma_f32 v77, v77, s56, -v27                              // 000000005440: D1CB004D 846C714D
	v_fma_f32 v78, v78, s56, -v27                              // 000000005448: D1CB004E 846C714E
	v_fma_f32 v79, v79, s56, -v27                              // 000000005450: D1CB004F 846C714F
	v_exp_f32_e32 v64, v64                                     // 000000005458: 7E804140
	v_mfma_f32_32x32x8_bf16 v[128:143], v[208:209], v[80:81], v[128:143]// 00000000545C: D3E00080 0602A1D0
	v_exp_f32_e32 v65, v65                                     // 000000005464: 7E824141
	v_exp_f32_e32 v66, v66                                     // 000000005468: 7E844142
	v_mfma_f32_32x32x8_bf16 v[128:143], v[210:211], v[82:83], v[128:143]// 00000000546C: D3E00080 0602A5D2
	v_exp_f32_e32 v67, v67                                     // 000000005474: 7E864143
	v_exp_f32_e32 v68, v68                                     // 000000005478: 7E884144
	v_mfma_f32_32x32x8_bf16 v[128:143], v[212:213], v[84:85], v[128:143]// 00000000547C: D3E00080 0602A9D4
	v_exp_f32_e32 v69, v69                                     // 000000005484: 7E8A4145
	v_exp_f32_e32 v70, v70                                     // 000000005488: 7E8C4146
	v_mfma_f32_32x32x8_bf16 v[128:143], v[214:215], v[86:87], v[128:143]// 00000000548C: D3E00080 0602ADD6
	v_exp_f32_e32 v71, v71                                     // 000000005494: 7E8E4147
	v_exp_f32_e32 v72, v72                                     // 000000005498: 7E904148
	v_mfma_f32_32x32x8_bf16 v[144:159], v[216:217], v[80:81], v[144:159]// 00000000549C: D3E00090 0642A1D8
	v_exp_f32_e32 v73, v73                                     // 0000000054A4: 7E924149
	v_exp_f32_e32 v74, v74                                     // 0000000054A8: 7E94414A
	v_mfma_f32_32x32x8_bf16 v[144:159], v[218:219], v[82:83], v[144:159]// 0000000054AC: D3E00090 0642A5DA
	v_exp_f32_e32 v75, v75                                     // 0000000054B4: 7E96414B
	v_exp_f32_e32 v76, v76                                     // 0000000054B8: 7E98414C
	v_mfma_f32_32x32x8_bf16 v[144:159], v[220:221], v[84:85], v[144:159]// 0000000054BC: D3E00090 0642A9DC
	v_exp_f32_e32 v77, v77                                     // 0000000054C4: 7E9A414D
	v_exp_f32_e32 v78, v78                                     // 0000000054C8: 7E9C414E
	v_mfma_f32_32x32x8_bf16 v[144:159], v[222:223], v[86:87], v[144:159]// 0000000054CC: D3E00090 0642ADDE
	s_nop 0                                                    // 0000000054D4: BF800000
	s_waitcnt vmcnt(8)                                         // 0000000054D8: BF8C0F78
	s_barrier                                                  // 0000000054DC: BF8A0000
	s_nop 11                                                   // 0000000054E0: BF80000B
	s_nop 11                                                   // 0000000054E4: BF80000B
	ds_read_b128 v[192:195], v12 offset:8704                   // 0000000054E8: D9FE2200 C000000C
	ds_read_b128 v[196:199], v12 offset:8736                   // 0000000054F0: D9FE2220 C400000C
	ds_read_b128 v[200:203], v12 offset:8768                   // 0000000054F8: D9FE2240 C800000C
	ds_read_b128 v[204:207], v12 offset:8800                   // 000000005500: D9FE2260 CC00000C
	s_nop 15                                                   // 000000005508: BF80000F
	s_nop 15                                                   // 00000000550C: BF80000F
	s_nop 10                                                   // 000000005510: BF80000A
	buffer_load_dword v228, v8, s[16:19], s35 offen            // 000000005514: E0501000 2304E408
	ds_read_b128 v[208:211], v12 offset:8832                   // 00000000551C: D9FE2280 D000000C
	ds_read_b128 v[212:215], v12 offset:8864                   // 000000005524: D9FE22A0 D400000C
	buffer_load_dword v229, v9, s[16:19], s35 offen            // 00000000552C: E0501000 2304E509
	ds_read_b128 v[216:219], v12 offset:8896                   // 000000005534: D9FE22C0 D800000C
	ds_read_b128 v[220:223], v12 offset:8928                   // 00000000553C: D9FE22E0 DC00000C
	buffer_load_dword v230, v10, s[16:19], s35 offen           // 000000005544: E0501000 2304E60A
	buffer_load_dword v231, v11, s[16:19], s35 offen           // 00000000554C: E0501000 2304E70B
	s_add_i32 s35, s44, s35                                    // 000000005554: 8123232C
	s_add_u32 s40, 0x60, s39                                   // 000000005558: 802827FF 00000060
	s_nop 0                                                    // 000000005560: BF800000
	s_cmp_lt_u32 s40, s38                                      // 000000005564: BF0A2628
	s_cselect_b32 s44, s44, 0                                  // 000000005568: 852C802C
	s_add_i32 s52, s52, s53                                    // 00000000556C: 81343534
	s_addk_i32 s39, 0x20                                       // 000000005570: B7270020
	s_cmp_lt_i32 s39, s38                                      // 000000005574: BF042627
	s_nop 0                                                    // 000000005578: BF800000
	s_cbranch_scc0 label_0D3A                                  // 00000000557C: BF84049A
	s_branch label_0401                                        // 000000005580: BF82FB60

0000000000005584 <label_08A1>:
	s_setprio 1                                                // 000000005584: BF8F0001
	s_barrier                                                  // 000000005588: BF8A0000

000000000000558c <label_08A3>:
	buffer_load_dword v228, v8, s[16:19], s35 offen            // 00000000558C: E0501000 2304E408
	ds_read_b128 v[192:195], v12 offset:8704                   // 000000005594: D9FE2200 C000000C
	ds_read_b128 v[196:199], v12 offset:8736                   // 00000000559C: D9FE2220 C400000C
	buffer_load_dword v229, v9, s[16:19], s35 offen            // 0000000055A4: E0501000 2304E509
	ds_read_b128 v[200:203], v12 offset:8768                   // 0000000055AC: D9FE2240 C800000C
	ds_read_b128 v[204:207], v12 offset:8800                   // 0000000055B4: D9FE2260 CC00000C
	buffer_load_dword v230, v10, s[16:19], s35 offen           // 0000000055BC: E0501000 2304E60A
	ds_read_b128 v[208:211], v12 offset:8832                   // 0000000055C4: D9FE2280 D000000C
	ds_read_b128 v[212:215], v12 offset:8864                   // 0000000055CC: D9FE22A0 D400000C
	buffer_load_dword v231, v11, s[16:19], s35 offen           // 0000000055D4: E0501000 2304E70B
	ds_read_b128 v[216:219], v12 offset:8896                   // 0000000055DC: D9FE22C0 D800000C
	ds_read_b128 v[220:223], v12 offset:8928                   // 0000000055E4: D9FE22E0 DC00000C
	s_add_i32 s35, s44, s35                                    // 0000000055EC: 8123232C
	s_add_u32 s40, 64, s39                                     // 0000000055F0: 802827C0
	s_nop 0                                                    // 0000000055F4: BF800000
	s_cmp_lt_u32 s40, s38                                      // 0000000055F8: BF0A2628
	s_cselect_b32 s44, s44, 0                                  // 0000000055FC: 852C802C
	s_waitcnt vmcnt(8) lgkmcnt(0)                              // 000000005600: BF8C0078
	s_barrier                                                  // 000000005604: BF8A0000
	v_perm_b32 v232, v225, v224, s50                           // 000000005608: D1ED00E8 00CBC1E1
	v_perm_b32 v234, v225, v224, s49                           // 000000005610: D1ED00EA 00C7C1E1
	v_perm_b32 v233, v227, v226, s50                           // 000000005618: D1ED00E9 00CBC5E3
	v_perm_b32 v235, v227, v226, s49                           // 000000005620: D1ED00EB 00C7C5E3
	ds_write_b64 v14, v[232:233] offset:17408                  // 000000005628: D89A4400 0000E80E
	ds_write_b64 v14, v[234:235] offset:21568                  // 000000005630: D89A5440 0000EA0E
	s_nop 0                                                    // 000000005638: BF800000
	s_barrier                                                  // 00000000563C: BF8A0000
	v_mfma_f32_32x32x8_bf16 v[80:95], v[192:193], v[160:161], 0// 000000005640: D3E00050 020341C0
	v_exp_f32_e32 v79, v79                                     // 000000005648: 7E9E414F
	v_mul_f32_e32 v22, v20, v22                                // 00000000564C: 0A2C2D14
	v_add_f32_e32 v38, v65, v64                                // 000000005650: 024C8141
	v_add_f32_e32 v38, v66, v38                                // 000000005654: 024C4D42
	v_mfma_f32_32x32x8_bf16 v[80:95], v[194:195], v[162:163], v[80:95]// 000000005658: D3E00050 054345C2
	v_add_f32_e32 v38, v67, v38                                // 000000005660: 024C4D43
	v_add_f32_e32 v38, v68, v38                                // 000000005664: 024C4D44
	v_add_f32_e32 v38, v69, v38                                // 000000005668: 024C4D45
	v_add_f32_e32 v38, v70, v38                                // 00000000566C: 024C4D46
	v_add_f32_e32 v38, v71, v38                                // 000000005670: 024C4D47
	v_add_f32_e32 v38, v72, v38                                // 000000005674: 024C4D48
	v_add_f32_e32 v38, v73, v38                                // 000000005678: 024C4D49
	v_mfma_f32_32x32x8_bf16 v[80:95], v[196:197], v[164:165], v[80:95]// 00000000567C: D3E00050 054349C4
	v_add_f32_e32 v38, v74, v38                                // 000000005684: 024C4D4A
	v_add_f32_e32 v38, v75, v38                                // 000000005688: 024C4D4B
	v_add_f32_e32 v38, v76, v38                                // 00000000568C: 024C4D4C
	v_add_f32_e32 v38, v77, v38                                // 000000005690: 024C4D4D
	v_add_f32_e32 v38, v78, v38                                // 000000005694: 024C4D4E
	v_add_f32_e32 v38, v79, v38                                // 000000005698: 024C4D4F
	v_add_f32_e32 v22, v38, v22                                // 00000000569C: 022C2D26
	v_mfma_f32_32x32x8_bf16 v[80:95], v[198:199], v[166:167], v[80:95]// 0000000056A0: D3E00050 05434DC6
	s_waitcnt lgkmcnt(0)                                       // 0000000056A8: BF8CC07F
	s_barrier                                                  // 0000000056AC: BF8A0000
	v_mfma_f32_32x32x8_bf16 v[80:95], v[200:201], v[168:169], v[80:95]// 0000000056B0: D3E00050 054351C8
	v_mul_f32_e32 v96, v20, v96                                // 0000000056B8: 0AC0C114
	v_mul_f32_e32 v97, v20, v97                                // 0000000056BC: 0AC2C314
	v_mul_f32_e32 v98, v20, v98                                // 0000000056C0: 0AC4C514
	v_mul_f32_e32 v99, v20, v99                                // 0000000056C4: 0AC6C714
	v_mul_f32_e32 v100, v20, v100                              // 0000000056C8: 0AC8C914
	v_mul_f32_e32 v101, v20, v101                              // 0000000056CC: 0ACACB14
	v_mul_f32_e32 v102, v20, v102                              // 0000000056D0: 0ACCCD14
	v_mfma_f32_32x32x8_bf16 v[80:95], v[202:203], v[170:171], v[80:95]// 0000000056D4: D3E00050 054355CA
	v_mul_f32_e32 v103, v20, v103                              // 0000000056DC: 0ACECF14
	v_mul_f32_e32 v104, v20, v104                              // 0000000056E0: 0AD0D114
	v_mul_f32_e32 v105, v20, v105                              // 0000000056E4: 0AD2D314
	v_mul_f32_e32 v106, v20, v106                              // 0000000056E8: 0AD4D514
	v_mul_f32_e32 v107, v20, v107                              // 0000000056EC: 0AD6D714
	v_mul_f32_e32 v108, v20, v108                              // 0000000056F0: 0AD8D914
	v_mul_f32_e32 v109, v20, v109                              // 0000000056F4: 0ADADB14
	v_mfma_f32_32x32x8_bf16 v[80:95], v[204:205], v[172:173], v[80:95]// 0000000056F8: D3E00050 054359CC
	v_mul_f32_e32 v110, v20, v110                              // 000000005700: 0ADCDD14
	v_mul_f32_e32 v111, v20, v111                              // 000000005704: 0ADEDF14
	v_mul_f32_e32 v112, v20, v112                              // 000000005708: 0AE0E114
	v_mul_f32_e32 v113, v20, v113                              // 00000000570C: 0AE2E314
	v_mul_f32_e32 v114, v20, v114                              // 000000005710: 0AE4E514
	v_mul_f32_e32 v115, v20, v115                              // 000000005714: 0AE6E714
	v_mul_f32_e32 v116, v20, v116                              // 000000005718: 0AE8E914
	v_mfma_f32_32x32x8_bf16 v[80:95], v[206:207], v[174:175], v[80:95]// 00000000571C: D3E00050 05435DCE
	v_mul_f32_e32 v117, v20, v117                              // 000000005724: 0AEAEB14
	v_mul_f32_e32 v118, v20, v118                              // 000000005728: 0AECED14
	v_mul_f32_e32 v119, v20, v119                              // 00000000572C: 0AEEEF14
	v_mul_f32_e32 v120, v20, v120                              // 000000005730: 0AF0F114
	v_mul_f32_e32 v121, v20, v121                              // 000000005734: 0AF2F314
	v_mul_f32_e32 v122, v20, v122                              // 000000005738: 0AF4F514
	v_mul_f32_e32 v123, v20, v123                              // 00000000573C: 0AF6F714
	v_mfma_f32_32x32x8_bf16 v[80:95], v[208:209], v[176:177], v[80:95]// 000000005740: D3E00050 054361D0
	v_mul_f32_e32 v124, v20, v124                              // 000000005748: 0AF8F914
	v_mul_f32_e32 v125, v20, v125                              // 00000000574C: 0AFAFB14
	v_mul_f32_e32 v126, v20, v126                              // 000000005750: 0AFCFD14
	v_mul_f32_e32 v127, v20, v127                              // 000000005754: 0AFEFF14
	v_mul_f32_e32 v128, v20, v128                              // 000000005758: 0B010114
	v_mul_f32_e32 v129, v20, v129                              // 00000000575C: 0B030314
	v_mul_f32_e32 v130, v20, v130                              // 000000005760: 0B050514
	v_mfma_f32_32x32x8_bf16 v[80:95], v[210:211], v[178:179], v[80:95]// 000000005764: D3E00050 054365D2
	v_mul_f32_e32 v131, v20, v131                              // 00000000576C: 0B070714
	v_mul_f32_e32 v132, v20, v132                              // 000000005770: 0B090914
	v_mul_f32_e32 v133, v20, v133                              // 000000005774: 0B0B0B14
	v_mul_f32_e32 v134, v20, v134                              // 000000005778: 0B0D0D14
	v_mul_f32_e32 v135, v20, v135                              // 00000000577C: 0B0F0F14
	v_mul_f32_e32 v136, v20, v136                              // 000000005780: 0B111114
	v_mul_f32_e32 v137, v20, v137                              // 000000005784: 0B131314
	v_mfma_f32_32x32x8_bf16 v[80:95], v[212:213], v[180:181], v[80:95]// 000000005788: D3E00050 054369D4
	v_mul_f32_e32 v138, v20, v138                              // 000000005790: 0B151514
	v_mul_f32_e32 v139, v20, v139                              // 000000005794: 0B171714
	v_mul_f32_e32 v140, v20, v140                              // 000000005798: 0B191914
	v_mul_f32_e32 v141, v20, v141                              // 00000000579C: 0B1B1B14
	v_mul_f32_e32 v142, v20, v142                              // 0000000057A0: 0B1D1D14
	v_mul_f32_e32 v143, v20, v143                              // 0000000057A4: 0B1F1F14
	v_mul_f32_e32 v144, v20, v144                              // 0000000057A8: 0B212114
	v_mfma_f32_32x32x8_bf16 v[80:95], v[214:215], v[182:183], v[80:95]// 0000000057AC: D3E00050 05436DD6
	v_mul_f32_e32 v145, v20, v145                              // 0000000057B4: 0B232314
	v_mul_f32_e32 v146, v20, v146                              // 0000000057B8: 0B252514
	v_mul_f32_e32 v147, v20, v147                              // 0000000057BC: 0B272714
	v_mul_f32_e32 v148, v20, v148                              // 0000000057C0: 0B292914
	v_mul_f32_e32 v149, v20, v149                              // 0000000057C4: 0B2B2B14
	v_mul_f32_e32 v150, v20, v150                              // 0000000057C8: 0B2D2D14
	v_mul_f32_e32 v151, v20, v151                              // 0000000057CC: 0B2F2F14
	v_mfma_f32_32x32x8_bf16 v[80:95], v[216:217], v[184:185], v[80:95]// 0000000057D0: D3E00050 054371D8
	v_mul_f32_e32 v152, v20, v152                              // 0000000057D8: 0B313114
	v_mul_f32_e32 v153, v20, v153                              // 0000000057DC: 0B333314
	v_mul_f32_e32 v154, v20, v154                              // 0000000057E0: 0B353514
	v_mul_f32_e32 v155, v20, v155                              // 0000000057E4: 0B373714
	v_mul_f32_e32 v156, v20, v156                              // 0000000057E8: 0B393914
	v_mul_f32_e32 v157, v20, v157                              // 0000000057EC: 0B3B3B14
	v_mul_f32_e32 v158, v20, v158                              // 0000000057F0: 0B3D3D14
	v_mfma_f32_32x32x8_bf16 v[80:95], v[218:219], v[186:187], v[80:95]// 0000000057F4: D3E00050 054375DA
	v_mul_f32_e32 v159, v20, v159                              // 0000000057FC: 0B3F3F14
	v_cmp_u_f32_e64 s[70:71], v64, v64                         // 000000005800: D0480046 00028140
	v_add3_u32 v40, v64, v43, 1                                // 000000005808: D1FF0028 02065740
	v_cndmask_b32_e64 v16, v40, v42, s[70:71]                  // 000000005810: D1000010 011A5528
	v_cmp_u_f32_e64 s[70:71], v65, v65                         // 000000005818: D0480046 00028341
	v_add3_u32 v40, v65, v43, 1                                // 000000005820: D1FF0028 02065741
	v_cndmask_b32_e64 v17, v40, v42, s[70:71]                  // 000000005828: D1000011 011A5528
	v_perm_b32 v64, v17, v16, s49                              // 000000005830: D1ED0040 00C62111
	v_cmp_u_f32_e64 s[70:71], v66, v66                         // 000000005838: D0480046 00028542
	v_add3_u32 v40, v66, v43, 1                                // 000000005840: D1FF0028 02065742
	v_cndmask_b32_e64 v16, v40, v42, s[70:71]                  // 000000005848: D1000010 011A5528
	v_cmp_u_f32_e64 s[70:71], v67, v67                         // 000000005850: D0480046 00028743
	v_add3_u32 v40, v67, v43, 1                                // 000000005858: D1FF0028 02065743
	v_cndmask_b32_e64 v17, v40, v42, s[70:71]                  // 000000005860: D1000011 011A5528
	v_perm_b32 v65, v17, v16, s49                              // 000000005868: D1ED0041 00C62111
	v_cmp_u_f32_e64 s[70:71], v68, v68                         // 000000005870: D0480046 00028944
	v_add3_u32 v40, v68, v43, 1                                // 000000005878: D1FF0028 02065744
	v_cndmask_b32_e64 v16, v40, v42, s[70:71]                  // 000000005880: D1000010 011A5528
	v_cmp_u_f32_e64 s[70:71], v69, v69                         // 000000005888: D0480046 00028B45
	v_add3_u32 v40, v69, v43, 1                                // 000000005890: D1FF0028 02065745
	v_cndmask_b32_e64 v17, v40, v42, s[70:71]                  // 000000005898: D1000011 011A5528
	v_perm_b32 v66, v17, v16, s49                              // 0000000058A0: D1ED0042 00C62111
	v_cmp_u_f32_e64 s[70:71], v70, v70                         // 0000000058A8: D0480046 00028D46
	v_add3_u32 v40, v70, v43, 1                                // 0000000058B0: D1FF0028 02065746
	v_cndmask_b32_e64 v16, v40, v42, s[70:71]                  // 0000000058B8: D1000010 011A5528
	v_cmp_u_f32_e64 s[70:71], v71, v71                         // 0000000058C0: D0480046 00028F47
	v_add3_u32 v40, v71, v43, 1                                // 0000000058C8: D1FF0028 02065747
	v_cndmask_b32_e64 v17, v40, v42, s[70:71]                  // 0000000058D0: D1000011 011A5528
	v_perm_b32 v67, v17, v16, s49                              // 0000000058D8: D1ED0043 00C62111
	v_cmp_u_f32_e64 s[70:71], v72, v72                         // 0000000058E0: D0480046 00029148
	v_add3_u32 v40, v72, v43, 1                                // 0000000058E8: D1FF0028 02065748
	v_cndmask_b32_e64 v16, v40, v42, s[70:71]                  // 0000000058F0: D1000010 011A5528
	v_cmp_u_f32_e64 s[70:71], v73, v73                         // 0000000058F8: D0480046 00029349
	v_add3_u32 v40, v73, v43, 1                                // 000000005900: D1FF0028 02065749
	v_cndmask_b32_e64 v17, v40, v42, s[70:71]                  // 000000005908: D1000011 011A5528
	v_perm_b32 v68, v17, v16, s49                              // 000000005910: D1ED0044 00C62111
	v_cmp_u_f32_e64 s[70:71], v74, v74                         // 000000005918: D0480046 0002954A
	v_add3_u32 v40, v74, v43, 1                                // 000000005920: D1FF0028 0206574A
	v_cndmask_b32_e64 v16, v40, v42, s[70:71]                  // 000000005928: D1000010 011A5528
	v_cmp_u_f32_e64 s[70:71], v75, v75                         // 000000005930: D0480046 0002974B
	v_add3_u32 v40, v75, v43, 1                                // 000000005938: D1FF0028 0206574B
	v_cndmask_b32_e64 v17, v40, v42, s[70:71]                  // 000000005940: D1000011 011A5528
	v_perm_b32 v69, v17, v16, s49                              // 000000005948: D1ED0045 00C62111
	v_mfma_f32_32x32x8_bf16 v[80:95], v[220:221], v[188:189], v[80:95]// 000000005950: D3E00050 054379DC
	v_cmp_u_f32_e64 s[70:71], v76, v76                         // 000000005958: D0480046 0002994C
	v_add3_u32 v40, v76, v43, 1                                // 000000005960: D1FF0028 0206574C
	v_cndmask_b32_e64 v16, v40, v42, s[70:71]                  // 000000005968: D1000010 011A5528
	v_cmp_u_f32_e64 s[70:71], v77, v77                         // 000000005970: D0480046 00029B4D
	v_add3_u32 v40, v77, v43, 1                                // 000000005978: D1FF0028 0206574D
	v_cndmask_b32_e64 v17, v40, v42, s[70:71]                  // 000000005980: D1000011 011A5528
	v_perm_b32 v70, v17, v16, s49                              // 000000005988: D1ED0046 00C62111
	v_cmp_u_f32_e64 s[70:71], v78, v78                         // 000000005990: D0480046 00029D4E
	v_add3_u32 v40, v78, v43, 1                                // 000000005998: D1FF0028 0206574E
	v_cndmask_b32_e64 v16, v40, v42, s[70:71]                  // 0000000059A0: D1000010 011A5528
	v_cmp_u_f32_e64 s[70:71], v79, v79                         // 0000000059A8: D0480046 00029F4F
	v_add3_u32 v40, v79, v43, 1                                // 0000000059B0: D1FF0028 0206574F
	v_cndmask_b32_e64 v17, v40, v42, s[70:71]                  // 0000000059B8: D1000011 011A5528
	v_perm_b32 v71, v17, v16, s49                              // 0000000059C0: D1ED0047 00C62111
	v_mfma_f32_32x32x8_bf16 v[80:95], v[222:223], v[190:191], v[80:95]// 0000000059C8: D3E00050 05437DDE
	s_barrier                                                  // 0000000059D0: BF8A0000
	s_cmp_lt_i32 s52, s51                                      // 0000000059D4: BF043334
	s_cbranch_scc1 label_0A42                                  // 0000000059D8: BF85008B
	s_sub_i32 s40, s51, s52                                    // 0000000059DC: 81A83433
	s_sub_i32 s41, s7, s30                                     // 0000000059E0: 81A91E07
	s_and_b32 s41, s41, 31                                     // 0000000059E4: 86299F29
	s_add_i32 s40, s40, s41                                    // 0000000059E8: 81282928
	v_add_i32 v16, v29, s40                                    // 0000000059EC: D29C0010 0000511D
	v_cmp_lt_i32_e64 s[72:73], v16, 0                          // 0000000059F4: D0C10048 00010110
	v_cmp_lt_i32_e64 s[74:75], v16, 1                          // 0000000059FC: D0C1004A 00010310
	v_cndmask_b32_e64 v80, v80, v31, s[72:73]                  // 000000005A04: D1000050 01223F50
	v_cndmask_b32_e64 v81, v81, v31, s[74:75]                  // 000000005A0C: D1000051 012A3F51
	v_cmp_lt_i32_e64 s[72:73], v16, 2                          // 000000005A14: D0C10048 00010510
	v_cmp_lt_i32_e64 s[74:75], v16, 3                          // 000000005A1C: D0C1004A 00010710
	v_cndmask_b32_e64 v82, v82, v31, s[72:73]                  // 000000005A24: D1000052 01223F52
	v_cndmask_b32_e64 v83, v83, v31, s[74:75]                  // 000000005A2C: D1000053 012A3F53
	v_cmp_lt_i32_e64 s[72:73], v16, 8                          // 000000005A34: D0C10048 00011110
	v_cmp_lt_i32_e64 s[74:75], v16, 9                          // 000000005A3C: D0C1004A 00011310
	v_cndmask_b32_e64 v84, v84, v31, s[72:73]                  // 000000005A44: D1000054 01223F54
	v_cndmask_b32_e64 v85, v85, v31, s[74:75]                  // 000000005A4C: D1000055 012A3F55
	v_cmp_lt_i32_e64 s[72:73], v16, 10                         // 000000005A54: D0C10048 00011510
	v_cmp_lt_i32_e64 s[74:75], v16, 11                         // 000000005A5C: D0C1004A 00011710
	v_cndmask_b32_e64 v86, v86, v31, s[72:73]                  // 000000005A64: D1000056 01223F56
	v_cndmask_b32_e64 v87, v87, v31, s[74:75]                  // 000000005A6C: D1000057 012A3F57
	v_cmp_lt_i32_e64 s[72:73], v16, 16                         // 000000005A74: D0C10048 00012110
	v_cmp_lt_i32_e64 s[74:75], v16, 17                         // 000000005A7C: D0C1004A 00012310
	v_cndmask_b32_e64 v88, v88, v31, s[72:73]                  // 000000005A84: D1000058 01223F58
	v_cndmask_b32_e64 v89, v89, v31, s[74:75]                  // 000000005A8C: D1000059 012A3F59
	v_cmp_lt_i32_e64 s[72:73], v16, 18                         // 000000005A94: D0C10048 00012510
	v_cmp_lt_i32_e64 s[74:75], v16, 19                         // 000000005A9C: D0C1004A 00012710
	v_cndmask_b32_e64 v90, v90, v31, s[72:73]                  // 000000005AA4: D100005A 01223F5A
	v_cndmask_b32_e64 v91, v91, v31, s[74:75]                  // 000000005AAC: D100005B 012A3F5B
	v_cmp_lt_i32_e64 s[72:73], v16, 24                         // 000000005AB4: D0C10048 00013110
	v_cmp_lt_i32_e64 s[74:75], v16, 25                         // 000000005ABC: D0C1004A 00013310
	v_cndmask_b32_e64 v92, v92, v31, s[72:73]                  // 000000005AC4: D100005C 01223F5C
	v_cndmask_b32_e64 v93, v93, v31, s[74:75]                  // 000000005ACC: D100005D 012A3F5D
	v_cmp_lt_i32_e64 s[72:73], v16, 26                         // 000000005AD4: D0C10048 00013510
	v_cmp_lt_i32_e64 s[74:75], v16, 27                         // 000000005ADC: D0C1004A 00013710
	v_cndmask_b32_e64 v94, v94, v31, s[72:73]                  // 000000005AE4: D100005E 01223F5E
	v_cndmask_b32_e64 v95, v95, v31, s[74:75]                  // 000000005AEC: D100005F 012A3F5F
	s_cmp_lt_i32 s52, s54                                      // 000000005AF4: BF043634
	s_cbranch_scc1 label_0A42                                  // 000000005AF8: BF850043
	s_sub_i32 s40, s7, s52                                     // 000000005AFC: 81A83407
	v_sub_i32 v16, s40, v30                                    // 000000005B00: D29D0010 00023C28
	v_cmp_lt_i32_e64 s[72:73], 0, v16                          // 000000005B08: D0C10048 00022080
	v_cmp_lt_i32_e64 s[74:75], 1, v16                          // 000000005B10: D0C1004A 00022081
	v_cndmask_b32_e64 v80, v31, v80, s[72:73]                  // 000000005B18: D1000050 0122A11F
	v_cndmask_b32_e64 v81, v31, v81, s[74:75]                  // 000000005B20: D1000051 012AA31F
	v_cmp_lt_i32_e64 s[72:73], 2, v16                          // 000000005B28: D0C10048 00022082
	v_cmp_lt_i32_e64 s[74:75], 3, v16                          // 000000005B30: D0C1004A 00022083
	v_cndmask_b32_e64 v82, v31, v82, s[72:73]                  // 000000005B38: D1000052 0122A51F
	v_cndmask_b32_e64 v83, v31, v83, s[74:75]                  // 000000005B40: D1000053 012AA71F
	v_cmp_lt_i32_e64 s[72:73], 8, v16                          // 000000005B48: D0C10048 00022088
	v_cmp_lt_i32_e64 s[74:75], 9, v16                          // 000000005B50: D0C1004A 00022089
	v_cndmask_b32_e64 v84, v31, v84, s[72:73]                  // 000000005B58: D1000054 0122A91F
	v_cndmask_b32_e64 v85, v31, v85, s[74:75]                  // 000000005B60: D1000055 012AAB1F
	v_cmp_lt_i32_e64 s[72:73], 10, v16                         // 000000005B68: D0C10048 0002208A
	v_cmp_lt_i32_e64 s[74:75], 11, v16                         // 000000005B70: D0C1004A 0002208B
	v_cndmask_b32_e64 v86, v31, v86, s[72:73]                  // 000000005B78: D1000056 0122AD1F
	v_cndmask_b32_e64 v87, v31, v87, s[74:75]                  // 000000005B80: D1000057 012AAF1F
	v_cmp_lt_i32_e64 s[72:73], 16, v16                         // 000000005B88: D0C10048 00022090
	v_cmp_lt_i32_e64 s[74:75], 17, v16                         // 000000005B90: D0C1004A 00022091
	v_cndmask_b32_e64 v88, v31, v88, s[72:73]                  // 000000005B98: D1000058 0122B11F
	v_cndmask_b32_e64 v89, v31, v89, s[74:75]                  // 000000005BA0: D1000059 012AB31F
	v_cmp_lt_i32_e64 s[72:73], 18, v16                         // 000000005BA8: D0C10048 00022092
	v_cmp_lt_i32_e64 s[74:75], 19, v16                         // 000000005BB0: D0C1004A 00022093
	v_cndmask_b32_e64 v90, v31, v90, s[72:73]                  // 000000005BB8: D100005A 0122B51F
	v_cndmask_b32_e64 v91, v31, v91, s[74:75]                  // 000000005BC0: D100005B 012AB71F
	v_cmp_lt_i32_e64 s[72:73], 24, v16                         // 000000005BC8: D0C10048 00022098
	v_cmp_lt_i32_e64 s[74:75], 25, v16                         // 000000005BD0: D0C1004A 00022099
	v_cndmask_b32_e64 v92, v31, v92, s[72:73]                  // 000000005BD8: D100005C 0122B91F
	v_cndmask_b32_e64 v93, v31, v93, s[74:75]                  // 000000005BE0: D100005D 012ABB1F
	v_cmp_lt_i32_e64 s[72:73], 26, v16                         // 000000005BE8: D0C10048 0002209A
	v_cmp_lt_i32_e64 s[74:75], 27, v16                         // 000000005BF0: D0C1004A 0002209B
	v_cndmask_b32_e64 v94, v31, v94, s[72:73]                  // 000000005BF8: D100005E 0122BD1F
	v_cndmask_b32_e64 v95, v31, v95, s[74:75]                  // 000000005C00: D100005F 012ABF1F

0000000000005c08 <label_0A42>:
	s_nop 0                                                    // 000000005C08: BF800000
	s_nop 14                                                   // 000000005C0C: BF80000E
	s_mov_b32 m0, s69                                          // 000000005C10: BEFC0045
	ds_read_b64 v[192:193], v13 offset:17408                   // 000000005C14: D8EC4400 C000000D
	ds_read_b64 v[194:195], v13 offset:18432                   // 000000005C1C: D8EC4800 C200000D
	ds_read_b64 v[196:197], v13 offset:19456                   // 000000005C24: D8EC4C00 C400000D
	ds_read_b64 v[198:199], v13 offset:20480                   // 000000005C2C: D8EC5000 C600000D
	ds_read_b64 v[200:201], v13 offset:17536                   // 000000005C34: D8EC4480 C800000D
	ds_read_b64 v[202:203], v13 offset:18560                   // 000000005C3C: D8EC4880 CA00000D
	ds_read_b64 v[204:205], v13 offset:19584                   // 000000005C44: D8EC4C80 CC00000D
	ds_read_b64 v[206:207], v13 offset:20608                   // 000000005C4C: D8EC5080 CE00000D
	s_nop 15                                                   // 000000005C54: BF80000F
	s_nop 15                                                   // 000000005C58: BF80000F
	buffer_load_dword v4, s[12:15], s60 offen lds              // 000000005C5C: E0511000 3C030004
	s_add_u32 m0, 0x880, m0                                    // 000000005C64: 807C7CFF 00000880
	ds_read_b64 v[208:209], v13 offset:17664                   // 000000005C6C: D8EC4500 D000000D
	ds_read_b64 v[210:211], v13 offset:18688                   // 000000005C74: D8EC4900 D200000D
	ds_read_b64 v[212:213], v13 offset:19712                   // 000000005C7C: D8EC4D00 D400000D
	ds_read_b64 v[214:215], v13 offset:20736                   // 000000005C84: D8EC5100 D600000D
	buffer_load_dword v5, s[12:15], s60 offen lds              // 000000005C8C: E0511000 3C030005
	s_add_u32 m0, 0x880, m0                                    // 000000005C94: 807C7CFF 00000880
	ds_read_b64 v[216:217], v13 offset:17792                   // 000000005C9C: D8EC4580 D800000D
	ds_read_b64 v[218:219], v13 offset:18816                   // 000000005CA4: D8EC4980 DA00000D
	ds_read_b64 v[220:221], v13 offset:19840                   // 000000005CAC: D8EC4D80 DC00000D
	ds_read_b64 v[222:223], v13 offset:20864                   // 000000005CB4: D8EC5180 DE00000D
	buffer_load_dword v6, s[12:15], s60 offen lds              // 000000005CBC: E0511000 3C030006
	s_add_u32 m0, 0x880, m0                                    // 000000005CC4: 807C7CFF 00000880
	buffer_load_dword v7, s[12:15], s60 offen lds              // 000000005CCC: E0511000 3C030007
	s_add_u32 m0, 0x880, m0                                    // 000000005CD4: 807C7CFF 00000880
	s_add_i32 s60, s43, s60                                    // 000000005CDC: 813C3C2B
	s_add_u32 s40, 0x80, s39                                   // 000000005CE0: 802827FF 00000080
	s_cmp_lt_u32 s40, s38                                      // 000000005CE8: BF0A2628
	s_cselect_b32 s43, s43, 0                                  // 000000005CEC: 852B802B
	s_add_i32 s52, s52, s53                                    // 000000005CF0: 81343534
	s_addk_i32 s39, 0x20                                       // 000000005CF4: B7270020
	s_cmp_lt_i32 s39, s38                                      // 000000005CF8: BF042627
	s_waitcnt vmcnt(8) lgkmcnt(0)                              // 000000005CFC: BF8C0078
	s_barrier                                                  // 000000005D00: BF8A0000
	v_mfma_f32_32x32x8_bf16 v[96:111], v[192:193], v[64:65], v[96:111]// 000000005D04: D3E00060 058281C0
	v_max3_f32 v25, v80, v81, v28                              // 000000005D0C: D1D30019 0472A350
	v_max3_f32 v25, v82, v83, v25                              // 000000005D14: D1D30019 0466A752
	v_max3_f32 v25, v84, v85, v25                              // 000000005D1C: D1D30019 0466AB54
	v_max3_f32 v25, v86, v87, v25                              // 000000005D24: D1D30019 0466AF56
	v_max3_f32 v25, v88, v89, v25                              // 000000005D2C: D1D30019 0466B358
	v_max3_f32 v25, v90, v91, v25                              // 000000005D34: D1D30019 0466B75A
	v_max3_f32 v25, v92, v93, v25                              // 000000005D3C: D1D30019 0466BB5C
	v_mfma_f32_32x32x8_bf16 v[96:111], v[194:195], v[66:67], v[96:111]// 000000005D44: D3E00060 058285C2
	v_max3_f32 v25, v94, v95, v25                              // 000000005D4C: D1D30019 0466BF5E
	ds_permute_b32 v24, v32, v25                               // 000000005D54: D87C0000 18001920
	v_mfma_f32_32x32x8_bf16 v[96:111], v[196:197], v[68:69], v[96:111]// 000000005D5C: D3E00060 058289C4
	v_nop                                                      // 000000005D64: 7E000000
	s_nop 0                                                    // 000000005D68: BF800000
	v_mfma_f32_32x32x8_bf16 v[96:111], v[198:199], v[70:71], v[96:111]// 000000005D6C: D3E00060 05828DC6
	v_nop                                                      // 000000005D74: 7E000000
	v_mfma_f32_32x32x8_bf16 v[112:127], v[200:201], v[64:65], v[112:127]// 000000005D78: D3E00070 05C281C8
	s_waitcnt lgkmcnt(0)                                       // 000000005D80: BF8CC07F
	v_max_f32_e32 v25, v24, v25                                // 000000005D84: 16323318
	v_sub_f32_e32 v20, v28, v25                                // 000000005D88: 0428331C
	v_mov_b32_e32 v28, v25                                     // 000000005D8C: 7E380319
	v_mul_f32_e32 v27, s56, v25                                // 000000005D90: 0A363238
	v_mul_f32_e32 v20, s56, v20                                // 000000005D94: 0A282838
	v_mfma_f32_32x32x8_bf16 v[112:127], v[202:203], v[66:67], v[112:127]// 000000005D98: D3E00070 05C285CA
	v_exp_f32_e32 v20, v20                                     // 000000005DA0: 7E284114
	v_fma_f32 v80, v80, s56, -v27                              // 000000005DA4: D1CB0050 846C7150
	v_fma_f32 v81, v81, s56, -v27                              // 000000005DAC: D1CB0051 846C7151
	v_fma_f32 v82, v82, s56, -v27                              // 000000005DB4: D1CB0052 846C7152
	v_mfma_f32_32x32x8_bf16 v[112:127], v[204:205], v[68:69], v[112:127]// 000000005DBC: D3E00070 05C289CC
	v_fma_f32 v83, v83, s56, -v27                              // 000000005DC4: D1CB0053 846C7153
	v_fma_f32 v84, v84, s56, -v27                              // 000000005DCC: D1CB0054 846C7154
	v_fma_f32 v85, v85, s56, -v27                              // 000000005DD4: D1CB0055 846C7155
	v_fma_f32 v86, v86, s56, -v27                              // 000000005DDC: D1CB0056 846C7156
	v_fma_f32 v87, v87, s56, -v27                              // 000000005DE4: D1CB0057 846C7157
	v_fma_f32 v88, v88, s56, -v27                              // 000000005DEC: D1CB0058 846C7158
	v_fma_f32 v89, v89, s56, -v27                              // 000000005DF4: D1CB0059 846C7159
	v_mfma_f32_32x32x8_bf16 v[112:127], v[206:207], v[70:71], v[112:127]// 000000005DFC: D3E00070 05C28DCE
	v_fma_f32 v90, v90, s56, -v27                              // 000000005E04: D1CB005A 846C715A
	v_fma_f32 v91, v91, s56, -v27                              // 000000005E0C: D1CB005B 846C715B
	v_fma_f32 v92, v92, s56, -v27                              // 000000005E14: D1CB005C 846C715C
	v_fma_f32 v93, v93, s56, -v27                              // 000000005E1C: D1CB005D 846C715D
	v_fma_f32 v94, v94, s56, -v27                              // 000000005E24: D1CB005E 846C715E
	v_fma_f32 v95, v95, s56, -v27                              // 000000005E2C: D1CB005F 846C715F
	v_exp_f32_e32 v80, v80                                     // 000000005E34: 7EA04150
	v_mfma_f32_32x32x8_bf16 v[128:143], v[208:209], v[64:65], v[128:143]// 000000005E38: D3E00080 060281D0
	v_exp_f32_e32 v81, v81                                     // 000000005E40: 7EA24151
	v_exp_f32_e32 v82, v82                                     // 000000005E44: 7EA44152
	v_mfma_f32_32x32x8_bf16 v[128:143], v[210:211], v[66:67], v[128:143]// 000000005E48: D3E00080 060285D2
	v_exp_f32_e32 v83, v83                                     // 000000005E50: 7EA64153
	v_exp_f32_e32 v84, v84                                     // 000000005E54: 7EA84154
	v_mfma_f32_32x32x8_bf16 v[128:143], v[212:213], v[68:69], v[128:143]// 000000005E58: D3E00080 060289D4
	v_exp_f32_e32 v85, v85                                     // 000000005E60: 7EAA4155
	v_exp_f32_e32 v86, v86                                     // 000000005E64: 7EAC4156
	v_mfma_f32_32x32x8_bf16 v[128:143], v[214:215], v[70:71], v[128:143]// 000000005E68: D3E00080 06028DD6
	v_exp_f32_e32 v87, v87                                     // 000000005E70: 7EAE4157
	v_exp_f32_e32 v88, v88                                     // 000000005E74: 7EB04158
	v_mfma_f32_32x32x8_bf16 v[144:159], v[216:217], v[64:65], v[144:159]// 000000005E78: D3E00090 064281D8
	v_exp_f32_e32 v89, v89                                     // 000000005E80: 7EB24159
	v_exp_f32_e32 v90, v90                                     // 000000005E84: 7EB4415A
	v_mfma_f32_32x32x8_bf16 v[144:159], v[218:219], v[66:67], v[144:159]// 000000005E88: D3E00090 064285DA
	v_exp_f32_e32 v91, v91                                     // 000000005E90: 7EB6415B
	v_exp_f32_e32 v92, v92                                     // 000000005E94: 7EB8415C
	v_mfma_f32_32x32x8_bf16 v[144:159], v[220:221], v[68:69], v[144:159]// 000000005E98: D3E00090 064289DC
	v_exp_f32_e32 v93, v93                                     // 000000005EA0: 7EBA415D
	v_exp_f32_e32 v94, v94                                     // 000000005EA4: 7EBC415E
	v_mfma_f32_32x32x8_bf16 v[144:159], v[222:223], v[70:71], v[144:159]// 000000005EA8: D3E00090 06428DDE
	v_nop                                                      // 000000005EB0: 7E000000
	s_cbranch_scc0 label_0D3A                                  // 000000005EB4: BF84024C
	buffer_load_dword v224, v8, s[16:19], s35 offen            // 000000005EB8: E0501000 2304E008
	ds_read_b128 v[192:195], v12                               // 000000005EC0: D9FE0000 C000000C
	ds_read_b128 v[196:199], v12 offset:32                     // 000000005EC8: D9FE0020 C400000C
	buffer_load_dword v225, v9, s[16:19], s35 offen            // 000000005ED0: E0501000 2304E109
	ds_read_b128 v[200:203], v12 offset:64                     // 000000005ED8: D9FE0040 C800000C
	ds_read_b128 v[204:207], v12 offset:96                     // 000000005EE0: D9FE0060 CC00000C
	buffer_load_dword v226, v10, s[16:19], s35 offen           // 000000005EE8: E0501000 2304E20A
	ds_read_b128 v[208:211], v12 offset:128                    // 000000005EF0: D9FE0080 D000000C
	ds_read_b128 v[212:215], v12 offset:160                    // 000000005EF8: D9FE00A0 D400000C
	buffer_load_dword v227, v11, s[16:19], s35 offen           // 000000005F00: E0501000 2304E30B
	ds_read_b128 v[216:219], v12 offset:192                    // 000000005F08: D9FE00C0 D800000C
	ds_read_b128 v[220:223], v12 offset:224                    // 000000005F10: D9FE00E0 DC00000C
	s_add_i32 s35, s44, s35                                    // 000000005F18: 8123232C
	s_add_u32 s40, 64, s39                                     // 000000005F1C: 802827C0
	s_nop 0                                                    // 000000005F20: BF800000
	s_cmp_lt_u32 s40, s38                                      // 000000005F24: BF0A2628
	s_cselect_b32 s44, s44, 0                                  // 000000005F28: 852C802C
	s_waitcnt vmcnt(8) lgkmcnt(0)                              // 000000005F2C: BF8C0078
	s_barrier                                                  // 000000005F30: BF8A0000
	v_perm_b32 v232, v229, v228, s50                           // 000000005F34: D1ED00E8 00CBC9E5
	v_perm_b32 v234, v229, v228, s49                           // 000000005F3C: D1ED00EA 00C7C9E5
	v_perm_b32 v233, v231, v230, s50                           // 000000005F44: D1ED00E9 00CBCDE7
	v_perm_b32 v235, v231, v230, s49                           // 000000005F4C: D1ED00EB 00C7CDE7
	ds_write_b64 v14, v[232:233] offset:17408                  // 000000005F54: D89A4400 0000E80E
	ds_write_b64 v14, v[234:235] offset:21568                  // 000000005F5C: D89A5440 0000EA0E
	s_nop 0                                                    // 000000005F64: BF800000
	s_barrier                                                  // 000000005F68: BF8A0000
	v_mfma_f32_32x32x8_bf16 v[64:79], v[192:193], v[160:161], 0// 000000005F6C: D3E00040 020341C0
	v_exp_f32_e32 v95, v95                                     // 000000005F74: 7EBE415F
	v_mul_f32_e32 v22, v20, v22                                // 000000005F78: 0A2C2D14
	v_add_f32_e32 v38, v81, v80                                // 000000005F7C: 024CA151
	v_add_f32_e32 v38, v82, v38                                // 000000005F80: 024C4D52
	v_mfma_f32_32x32x8_bf16 v[64:79], v[194:195], v[162:163], v[64:79]// 000000005F84: D3E00040 050345C2
	v_add_f32_e32 v38, v83, v38                                // 000000005F8C: 024C4D53
	v_add_f32_e32 v38, v84, v38                                // 000000005F90: 024C4D54
	v_add_f32_e32 v38, v85, v38                                // 000000005F94: 024C4D55
	v_add_f32_e32 v38, v86, v38                                // 000000005F98: 024C4D56
	v_add_f32_e32 v38, v87, v38                                // 000000005F9C: 024C4D57
	v_add_f32_e32 v38, v88, v38                                // 000000005FA0: 024C4D58
	v_add_f32_e32 v38, v89, v38                                // 000000005FA4: 024C4D59
	v_mfma_f32_32x32x8_bf16 v[64:79], v[196:197], v[164:165], v[64:79]// 000000005FA8: D3E00040 050349C4
	v_add_f32_e32 v38, v90, v38                                // 000000005FB0: 024C4D5A
	v_add_f32_e32 v38, v91, v38                                // 000000005FB4: 024C4D5B
	v_add_f32_e32 v38, v92, v38                                // 000000005FB8: 024C4D5C
	v_add_f32_e32 v38, v93, v38                                // 000000005FBC: 024C4D5D
	v_add_f32_e32 v38, v94, v38                                // 000000005FC0: 024C4D5E
	v_add_f32_e32 v38, v95, v38                                // 000000005FC4: 024C4D5F
	v_add_f32_e32 v22, v38, v22                                // 000000005FC8: 022C2D26
	v_mfma_f32_32x32x8_bf16 v[64:79], v[198:199], v[166:167], v[64:79]// 000000005FCC: D3E00040 05034DC6
	s_waitcnt lgkmcnt(0)                                       // 000000005FD4: BF8CC07F
	s_barrier                                                  // 000000005FD8: BF8A0000
	v_mfma_f32_32x32x8_bf16 v[64:79], v[200:201], v[168:169], v[64:79]// 000000005FDC: D3E00040 050351C8
	v_mul_f32_e32 v96, v20, v96                                // 000000005FE4: 0AC0C114
	v_mul_f32_e32 v97, v20, v97                                // 000000005FE8: 0AC2C314
	v_mul_f32_e32 v98, v20, v98                                // 000000005FEC: 0AC4C514
	v_mul_f32_e32 v99, v20, v99                                // 000000005FF0: 0AC6C714
	v_mul_f32_e32 v100, v20, v100                              // 000000005FF4: 0AC8C914
	v_mul_f32_e32 v101, v20, v101                              // 000000005FF8: 0ACACB14
	v_mul_f32_e32 v102, v20, v102                              // 000000005FFC: 0ACCCD14
	v_mfma_f32_32x32x8_bf16 v[64:79], v[202:203], v[170:171], v[64:79]// 000000006000: D3E00040 050355CA
	v_mul_f32_e32 v103, v20, v103                              // 000000006008: 0ACECF14
	v_mul_f32_e32 v104, v20, v104                              // 00000000600C: 0AD0D114
	v_mul_f32_e32 v105, v20, v105                              // 000000006010: 0AD2D314
	v_mul_f32_e32 v106, v20, v106                              // 000000006014: 0AD4D514
	v_mul_f32_e32 v107, v20, v107                              // 000000006018: 0AD6D714
	v_mul_f32_e32 v108, v20, v108                              // 00000000601C: 0AD8D914
	v_mul_f32_e32 v109, v20, v109                              // 000000006020: 0ADADB14
	v_mfma_f32_32x32x8_bf16 v[64:79], v[204:205], v[172:173], v[64:79]// 000000006024: D3E00040 050359CC
	v_mul_f32_e32 v110, v20, v110                              // 00000000602C: 0ADCDD14
	v_mul_f32_e32 v111, v20, v111                              // 000000006030: 0ADEDF14
	v_mul_f32_e32 v112, v20, v112                              // 000000006034: 0AE0E114
	v_mul_f32_e32 v113, v20, v113                              // 000000006038: 0AE2E314
	v_mul_f32_e32 v114, v20, v114                              // 00000000603C: 0AE4E514
	v_mul_f32_e32 v115, v20, v115                              // 000000006040: 0AE6E714
	v_mul_f32_e32 v116, v20, v116                              // 000000006044: 0AE8E914
	v_mfma_f32_32x32x8_bf16 v[64:79], v[206:207], v[174:175], v[64:79]// 000000006048: D3E00040 05035DCE
	v_mul_f32_e32 v117, v20, v117                              // 000000006050: 0AEAEB14
	v_mul_f32_e32 v118, v20, v118                              // 000000006054: 0AECED14
	v_mul_f32_e32 v119, v20, v119                              // 000000006058: 0AEEEF14
	v_mul_f32_e32 v120, v20, v120                              // 00000000605C: 0AF0F114
	v_mul_f32_e32 v121, v20, v121                              // 000000006060: 0AF2F314
	v_mul_f32_e32 v122, v20, v122                              // 000000006064: 0AF4F514
	v_mul_f32_e32 v123, v20, v123                              // 000000006068: 0AF6F714
	v_mfma_f32_32x32x8_bf16 v[64:79], v[208:209], v[176:177], v[64:79]// 00000000606C: D3E00040 050361D0
	v_mul_f32_e32 v124, v20, v124                              // 000000006074: 0AF8F914
	v_mul_f32_e32 v125, v20, v125                              // 000000006078: 0AFAFB14
	v_mul_f32_e32 v126, v20, v126                              // 00000000607C: 0AFCFD14
	v_mul_f32_e32 v127, v20, v127                              // 000000006080: 0AFEFF14
	v_mul_f32_e32 v128, v20, v128                              // 000000006084: 0B010114
	v_mul_f32_e32 v129, v20, v129                              // 000000006088: 0B030314
	v_mul_f32_e32 v130, v20, v130                              // 00000000608C: 0B050514
	v_mfma_f32_32x32x8_bf16 v[64:79], v[210:211], v[178:179], v[64:79]// 000000006090: D3E00040 050365D2
	v_mul_f32_e32 v131, v20, v131                              // 000000006098: 0B070714
	v_mul_f32_e32 v132, v20, v132                              // 00000000609C: 0B090914
	v_mul_f32_e32 v133, v20, v133                              // 0000000060A0: 0B0B0B14
	v_mul_f32_e32 v134, v20, v134                              // 0000000060A4: 0B0D0D14
	v_mul_f32_e32 v135, v20, v135                              // 0000000060A8: 0B0F0F14
	v_mul_f32_e32 v136, v20, v136                              // 0000000060AC: 0B111114
	v_mul_f32_e32 v137, v20, v137                              // 0000000060B0: 0B131314
	v_mfma_f32_32x32x8_bf16 v[64:79], v[212:213], v[180:181], v[64:79]// 0000000060B4: D3E00040 050369D4
	v_mul_f32_e32 v138, v20, v138                              // 0000000060BC: 0B151514
	v_mul_f32_e32 v139, v20, v139                              // 0000000060C0: 0B171714
	v_mul_f32_e32 v140, v20, v140                              // 0000000060C4: 0B191914
	v_mul_f32_e32 v141, v20, v141                              // 0000000060C8: 0B1B1B14
	v_mul_f32_e32 v142, v20, v142                              // 0000000060CC: 0B1D1D14
	v_mul_f32_e32 v143, v20, v143                              // 0000000060D0: 0B1F1F14
	v_mul_f32_e32 v144, v20, v144                              // 0000000060D4: 0B212114
	v_mfma_f32_32x32x8_bf16 v[64:79], v[214:215], v[182:183], v[64:79]// 0000000060D8: D3E00040 05036DD6
	v_mul_f32_e32 v145, v20, v145                              // 0000000060E0: 0B232314
	v_mul_f32_e32 v146, v20, v146                              // 0000000060E4: 0B252514
	v_mul_f32_e32 v147, v20, v147                              // 0000000060E8: 0B272714
	v_mul_f32_e32 v148, v20, v148                              // 0000000060EC: 0B292914
	v_mul_f32_e32 v149, v20, v149                              // 0000000060F0: 0B2B2B14
	v_mul_f32_e32 v150, v20, v150                              // 0000000060F4: 0B2D2D14
	v_mul_f32_e32 v151, v20, v151                              // 0000000060F8: 0B2F2F14
	v_mfma_f32_32x32x8_bf16 v[64:79], v[216:217], v[184:185], v[64:79]// 0000000060FC: D3E00040 050371D8
	v_mul_f32_e32 v152, v20, v152                              // 000000006104: 0B313114
	v_mul_f32_e32 v153, v20, v153                              // 000000006108: 0B333314
	v_mul_f32_e32 v154, v20, v154                              // 00000000610C: 0B353514
	v_mul_f32_e32 v155, v20, v155                              // 000000006110: 0B373714
	v_mul_f32_e32 v156, v20, v156                              // 000000006114: 0B393914
	v_mul_f32_e32 v157, v20, v157                              // 000000006118: 0B3B3B14
	v_mul_f32_e32 v158, v20, v158                              // 00000000611C: 0B3D3D14
	v_mfma_f32_32x32x8_bf16 v[64:79], v[218:219], v[186:187], v[64:79]// 000000006120: D3E00040 050375DA
	v_mul_f32_e32 v159, v20, v159                              // 000000006128: 0B3F3F14
	v_cmp_u_f32_e64 s[70:71], v80, v80                         // 00000000612C: D0480046 0002A150
	v_add3_u32 v40, v80, v43, 1                                // 000000006134: D1FF0028 02065750
	v_cndmask_b32_e64 v16, v40, v42, s[70:71]                  // 00000000613C: D1000010 011A5528
	v_cmp_u_f32_e64 s[70:71], v81, v81                         // 000000006144: D0480046 0002A351
	v_add3_u32 v40, v81, v43, 1                                // 00000000614C: D1FF0028 02065751
	v_cndmask_b32_e64 v17, v40, v42, s[70:71]                  // 000000006154: D1000011 011A5528
	v_perm_b32 v80, v17, v16, s49                              // 00000000615C: D1ED0050 00C62111
	v_cmp_u_f32_e64 s[70:71], v82, v82                         // 000000006164: D0480046 0002A552
	v_add3_u32 v40, v82, v43, 1                                // 00000000616C: D1FF0028 02065752
	v_cndmask_b32_e64 v16, v40, v42, s[70:71]                  // 000000006174: D1000010 011A5528
	v_cmp_u_f32_e64 s[70:71], v83, v83                         // 00000000617C: D0480046 0002A753
	v_add3_u32 v40, v83, v43, 1                                // 000000006184: D1FF0028 02065753
	v_cndmask_b32_e64 v17, v40, v42, s[70:71]                  // 00000000618C: D1000011 011A5528
	v_perm_b32 v81, v17, v16, s49                              // 000000006194: D1ED0051 00C62111
	v_cmp_u_f32_e64 s[70:71], v84, v84                         // 00000000619C: D0480046 0002A954
	v_add3_u32 v40, v84, v43, 1                                // 0000000061A4: D1FF0028 02065754
	v_cndmask_b32_e64 v16, v40, v42, s[70:71]                  // 0000000061AC: D1000010 011A5528
	v_cmp_u_f32_e64 s[70:71], v85, v85                         // 0000000061B4: D0480046 0002AB55
	v_add3_u32 v40, v85, v43, 1                                // 0000000061BC: D1FF0028 02065755
	v_cndmask_b32_e64 v17, v40, v42, s[70:71]                  // 0000000061C4: D1000011 011A5528
	v_perm_b32 v82, v17, v16, s49                              // 0000000061CC: D1ED0052 00C62111
	v_cmp_u_f32_e64 s[70:71], v86, v86                         // 0000000061D4: D0480046 0002AD56
	v_add3_u32 v40, v86, v43, 1                                // 0000000061DC: D1FF0028 02065756
	v_cndmask_b32_e64 v16, v40, v42, s[70:71]                  // 0000000061E4: D1000010 011A5528
	v_cmp_u_f32_e64 s[70:71], v87, v87                         // 0000000061EC: D0480046 0002AF57
	v_add3_u32 v40, v87, v43, 1                                // 0000000061F4: D1FF0028 02065757
	v_cndmask_b32_e64 v17, v40, v42, s[70:71]                  // 0000000061FC: D1000011 011A5528
	v_perm_b32 v83, v17, v16, s49                              // 000000006204: D1ED0053 00C62111
	v_cmp_u_f32_e64 s[70:71], v88, v88                         // 00000000620C: D0480046 0002B158
	v_add3_u32 v40, v88, v43, 1                                // 000000006214: D1FF0028 02065758
	v_cndmask_b32_e64 v16, v40, v42, s[70:71]                  // 00000000621C: D1000010 011A5528
	v_cmp_u_f32_e64 s[70:71], v89, v89                         // 000000006224: D0480046 0002B359
	v_add3_u32 v40, v89, v43, 1                                // 00000000622C: D1FF0028 02065759
	v_cndmask_b32_e64 v17, v40, v42, s[70:71]                  // 000000006234: D1000011 011A5528
	v_perm_b32 v84, v17, v16, s49                              // 00000000623C: D1ED0054 00C62111
	v_cmp_u_f32_e64 s[70:71], v90, v90                         // 000000006244: D0480046 0002B55A
	v_add3_u32 v40, v90, v43, 1                                // 00000000624C: D1FF0028 0206575A
	v_cndmask_b32_e64 v16, v40, v42, s[70:71]                  // 000000006254: D1000010 011A5528
	v_cmp_u_f32_e64 s[70:71], v91, v91                         // 00000000625C: D0480046 0002B75B
	v_add3_u32 v40, v91, v43, 1                                // 000000006264: D1FF0028 0206575B
	v_cndmask_b32_e64 v17, v40, v42, s[70:71]                  // 00000000626C: D1000011 011A5528
	v_perm_b32 v85, v17, v16, s49                              // 000000006274: D1ED0055 00C62111
	v_mfma_f32_32x32x8_bf16 v[64:79], v[220:221], v[188:189], v[64:79]// 00000000627C: D3E00040 050379DC
	v_cmp_u_f32_e64 s[70:71], v92, v92                         // 000000006284: D0480046 0002B95C
	v_add3_u32 v40, v92, v43, 1                                // 00000000628C: D1FF0028 0206575C
	v_cndmask_b32_e64 v16, v40, v42, s[70:71]                  // 000000006294: D1000010 011A5528
	v_cmp_u_f32_e64 s[70:71], v93, v93                         // 00000000629C: D0480046 0002BB5D
	v_add3_u32 v40, v93, v43, 1                                // 0000000062A4: D1FF0028 0206575D
	v_cndmask_b32_e64 v17, v40, v42, s[70:71]                  // 0000000062AC: D1000011 011A5528
	v_perm_b32 v86, v17, v16, s49                              // 0000000062B4: D1ED0056 00C62111
	v_cmp_u_f32_e64 s[70:71], v94, v94                         // 0000000062BC: D0480046 0002BD5E
	v_add3_u32 v40, v94, v43, 1                                // 0000000062C4: D1FF0028 0206575E
	v_cndmask_b32_e64 v16, v40, v42, s[70:71]                  // 0000000062CC: D1000010 011A5528
	v_cmp_u_f32_e64 s[70:71], v95, v95                         // 0000000062D4: D0480046 0002BF5F
	v_add3_u32 v40, v95, v43, 1                                // 0000000062DC: D1FF0028 0206575F
	v_cndmask_b32_e64 v17, v40, v42, s[70:71]                  // 0000000062E4: D1000011 011A5528
	v_perm_b32 v87, v17, v16, s49                              // 0000000062EC: D1ED0057 00C62111
	v_mfma_f32_32x32x8_bf16 v[64:79], v[222:223], v[190:191], v[64:79]// 0000000062F4: D3E00040 05037DDE
	s_barrier                                                  // 0000000062FC: BF8A0000
	s_cmp_lt_i32 s52, s51                                      // 000000006300: BF043334
	s_cbranch_scc1 label_0C8D                                  // 000000006304: BF85008B
	s_sub_i32 s40, s51, s52                                    // 000000006308: 81A83433
	s_sub_i32 s41, s7, s30                                     // 00000000630C: 81A91E07
	s_and_b32 s41, s41, 31                                     // 000000006310: 86299F29
	s_add_i32 s40, s40, s41                                    // 000000006314: 81282928
	v_add_i32 v16, v29, s40                                    // 000000006318: D29C0010 0000511D
	v_cmp_lt_i32_e64 s[72:73], v16, 0                          // 000000006320: D0C10048 00010110
	v_cmp_lt_i32_e64 s[74:75], v16, 1                          // 000000006328: D0C1004A 00010310
	v_cndmask_b32_e64 v64, v64, v31, s[72:73]                  // 000000006330: D1000040 01223F40
	v_cndmask_b32_e64 v65, v65, v31, s[74:75]                  // 000000006338: D1000041 012A3F41
	v_cmp_lt_i32_e64 s[72:73], v16, 2                          // 000000006340: D0C10048 00010510
	v_cmp_lt_i32_e64 s[74:75], v16, 3                          // 000000006348: D0C1004A 00010710
	v_cndmask_b32_e64 v66, v66, v31, s[72:73]                  // 000000006350: D1000042 01223F42
	v_cndmask_b32_e64 v67, v67, v31, s[74:75]                  // 000000006358: D1000043 012A3F43
	v_cmp_lt_i32_e64 s[72:73], v16, 8                          // 000000006360: D0C10048 00011110
	v_cmp_lt_i32_e64 s[74:75], v16, 9                          // 000000006368: D0C1004A 00011310
	v_cndmask_b32_e64 v68, v68, v31, s[72:73]                  // 000000006370: D1000044 01223F44
	v_cndmask_b32_e64 v69, v69, v31, s[74:75]                  // 000000006378: D1000045 012A3F45
	v_cmp_lt_i32_e64 s[72:73], v16, 10                         // 000000006380: D0C10048 00011510
	v_cmp_lt_i32_e64 s[74:75], v16, 11                         // 000000006388: D0C1004A 00011710
	v_cndmask_b32_e64 v70, v70, v31, s[72:73]                  // 000000006390: D1000046 01223F46
	v_cndmask_b32_e64 v71, v71, v31, s[74:75]                  // 000000006398: D1000047 012A3F47
	v_cmp_lt_i32_e64 s[72:73], v16, 16                         // 0000000063A0: D0C10048 00012110
	v_cmp_lt_i32_e64 s[74:75], v16, 17                         // 0000000063A8: D0C1004A 00012310
	v_cndmask_b32_e64 v72, v72, v31, s[72:73]                  // 0000000063B0: D1000048 01223F48
	v_cndmask_b32_e64 v73, v73, v31, s[74:75]                  // 0000000063B8: D1000049 012A3F49
	v_cmp_lt_i32_e64 s[72:73], v16, 18                         // 0000000063C0: D0C10048 00012510
	v_cmp_lt_i32_e64 s[74:75], v16, 19                         // 0000000063C8: D0C1004A 00012710
	v_cndmask_b32_e64 v74, v74, v31, s[72:73]                  // 0000000063D0: D100004A 01223F4A
	v_cndmask_b32_e64 v75, v75, v31, s[74:75]                  // 0000000063D8: D100004B 012A3F4B
	v_cmp_lt_i32_e64 s[72:73], v16, 24                         // 0000000063E0: D0C10048 00013110
	v_cmp_lt_i32_e64 s[74:75], v16, 25                         // 0000000063E8: D0C1004A 00013310
	v_cndmask_b32_e64 v76, v76, v31, s[72:73]                  // 0000000063F0: D100004C 01223F4C
	v_cndmask_b32_e64 v77, v77, v31, s[74:75]                  // 0000000063F8: D100004D 012A3F4D
	v_cmp_lt_i32_e64 s[72:73], v16, 26                         // 000000006400: D0C10048 00013510
	v_cmp_lt_i32_e64 s[74:75], v16, 27                         // 000000006408: D0C1004A 00013710
	v_cndmask_b32_e64 v78, v78, v31, s[72:73]                  // 000000006410: D100004E 01223F4E
	v_cndmask_b32_e64 v79, v79, v31, s[74:75]                  // 000000006418: D100004F 012A3F4F
	s_cmp_lt_i32 s52, s54                                      // 000000006420: BF043634
	s_cbranch_scc1 label_0C8D                                  // 000000006424: BF850043
	s_sub_i32 s40, s7, s52                                     // 000000006428: 81A83407
	v_sub_i32 v16, s40, v30                                    // 00000000642C: D29D0010 00023C28
	v_cmp_lt_i32_e64 s[72:73], 0, v16                          // 000000006434: D0C10048 00022080
	v_cmp_lt_i32_e64 s[74:75], 1, v16                          // 00000000643C: D0C1004A 00022081
	v_cndmask_b32_e64 v64, v31, v64, s[72:73]                  // 000000006444: D1000040 0122811F
	v_cndmask_b32_e64 v65, v31, v65, s[74:75]                  // 00000000644C: D1000041 012A831F
	v_cmp_lt_i32_e64 s[72:73], 2, v16                          // 000000006454: D0C10048 00022082
	v_cmp_lt_i32_e64 s[74:75], 3, v16                          // 00000000645C: D0C1004A 00022083
	v_cndmask_b32_e64 v66, v31, v66, s[72:73]                  // 000000006464: D1000042 0122851F
	v_cndmask_b32_e64 v67, v31, v67, s[74:75]                  // 00000000646C: D1000043 012A871F
	v_cmp_lt_i32_e64 s[72:73], 8, v16                          // 000000006474: D0C10048 00022088
	v_cmp_lt_i32_e64 s[74:75], 9, v16                          // 00000000647C: D0C1004A 00022089
	v_cndmask_b32_e64 v68, v31, v68, s[72:73]                  // 000000006484: D1000044 0122891F
	v_cndmask_b32_e64 v69, v31, v69, s[74:75]                  // 00000000648C: D1000045 012A8B1F
	v_cmp_lt_i32_e64 s[72:73], 10, v16                         // 000000006494: D0C10048 0002208A
	v_cmp_lt_i32_e64 s[74:75], 11, v16                         // 00000000649C: D0C1004A 0002208B
	v_cndmask_b32_e64 v70, v31, v70, s[72:73]                  // 0000000064A4: D1000046 01228D1F
	v_cndmask_b32_e64 v71, v31, v71, s[74:75]                  // 0000000064AC: D1000047 012A8F1F
	v_cmp_lt_i32_e64 s[72:73], 16, v16                         // 0000000064B4: D0C10048 00022090
	v_cmp_lt_i32_e64 s[74:75], 17, v16                         // 0000000064BC: D0C1004A 00022091
	v_cndmask_b32_e64 v72, v31, v72, s[72:73]                  // 0000000064C4: D1000048 0122911F
	v_cndmask_b32_e64 v73, v31, v73, s[74:75]                  // 0000000064CC: D1000049 012A931F
	v_cmp_lt_i32_e64 s[72:73], 18, v16                         // 0000000064D4: D0C10048 00022092
	v_cmp_lt_i32_e64 s[74:75], 19, v16                         // 0000000064DC: D0C1004A 00022093
	v_cndmask_b32_e64 v74, v31, v74, s[72:73]                  // 0000000064E4: D100004A 0122951F
	v_cndmask_b32_e64 v75, v31, v75, s[74:75]                  // 0000000064EC: D100004B 012A971F
	v_cmp_lt_i32_e64 s[72:73], 24, v16                         // 0000000064F4: D0C10048 00022098
	v_cmp_lt_i32_e64 s[74:75], 25, v16                         // 0000000064FC: D0C1004A 00022099
	v_cndmask_b32_e64 v76, v31, v76, s[72:73]                  // 000000006504: D100004C 0122991F
	v_cndmask_b32_e64 v77, v31, v77, s[74:75]                  // 00000000650C: D100004D 012A9B1F
	v_cmp_lt_i32_e64 s[72:73], 26, v16                         // 000000006514: D0C10048 0002209A
	v_cmp_lt_i32_e64 s[74:75], 27, v16                         // 00000000651C: D0C1004A 0002209B
	v_cndmask_b32_e64 v78, v31, v78, s[72:73]                  // 000000006524: D100004E 01229D1F
	v_cndmask_b32_e64 v79, v31, v79, s[74:75]                  // 00000000652C: D100004F 012A9F1F

0000000000006534 <label_0C8D>:
	s_nop 0                                                    // 000000006534: BF800000
	s_nop 14                                                   // 000000006538: BF80000E
	s_mov_b32 m0, s68                                          // 00000000653C: BEFC0044
	ds_read_b64 v[192:193], v13 offset:17408                   // 000000006540: D8EC4400 C000000D
	ds_read_b64 v[194:195], v13 offset:18432                   // 000000006548: D8EC4800 C200000D
	ds_read_b64 v[196:197], v13 offset:19456                   // 000000006550: D8EC4C00 C400000D
	ds_read_b64 v[198:199], v13 offset:20480                   // 000000006558: D8EC5000 C600000D
	ds_read_b64 v[200:201], v13 offset:17536                   // 000000006560: D8EC4480 C800000D
	ds_read_b64 v[202:203], v13 offset:18560                   // 000000006568: D8EC4880 CA00000D
	ds_read_b64 v[204:205], v13 offset:19584                   // 000000006570: D8EC4C80 CC00000D
	ds_read_b64 v[206:207], v13 offset:20608                   // 000000006578: D8EC5080 CE00000D
	s_nop 15                                                   // 000000006580: BF80000F
	s_nop 15                                                   // 000000006584: BF80000F
	buffer_load_dword v4, s[12:15], s60 offen lds              // 000000006588: E0511000 3C030004
	s_add_u32 m0, 0x880, m0                                    // 000000006590: 807C7CFF 00000880
	ds_read_b64 v[208:209], v13 offset:17664                   // 000000006598: D8EC4500 D000000D
	ds_read_b64 v[210:211], v13 offset:18688                   // 0000000065A0: D8EC4900 D200000D
	ds_read_b64 v[212:213], v13 offset:19712                   // 0000000065A8: D8EC4D00 D400000D
	ds_read_b64 v[214:215], v13 offset:20736                   // 0000000065B0: D8EC5100 D600000D
	buffer_load_dword v5, s[12:15], s60 offen lds              // 0000000065B8: E0511000 3C030005
	s_add_u32 m0, 0x880, m0                                    // 0000000065C0: 807C7CFF 00000880
	ds_read_b64 v[216:217], v13 offset:17792                   // 0000000065C8: D8EC4580 D800000D
	ds_read_b64 v[218:219], v13 offset:18816                   // 0000000065D0: D8EC4980 DA00000D
	ds_read_b64 v[220:221], v13 offset:19840                   // 0000000065D8: D8EC4D80 DC00000D
	ds_read_b64 v[222:223], v13 offset:20864                   // 0000000065E0: D8EC5180 DE00000D
	buffer_load_dword v6, s[12:15], s60 offen lds              // 0000000065E8: E0511000 3C030006
	s_add_u32 m0, 0x880, m0                                    // 0000000065F0: 807C7CFF 00000880
	buffer_load_dword v7, s[12:15], s60 offen lds              // 0000000065F8: E0511000 3C030007
	s_add_u32 m0, 0x880, m0                                    // 000000006600: 807C7CFF 00000880
	s_add_i32 s60, s43, s60                                    // 000000006608: 813C3C2B
	s_add_u32 s40, 0x80, s39                                   // 00000000660C: 802827FF 00000080
	s_cmp_lt_u32 s40, s38                                      // 000000006614: BF0A2628
	s_cselect_b32 s43, s43, 0                                  // 000000006618: 852B802B
	s_add_i32 s52, s52, s53                                    // 00000000661C: 81343534
	s_addk_i32 s39, 0x20                                       // 000000006620: B7270020
	s_cmp_lt_i32 s39, s38                                      // 000000006624: BF042627
	s_waitcnt vmcnt(8) lgkmcnt(0)                              // 000000006628: BF8C0078
	s_barrier                                                  // 00000000662C: BF8A0000
	v_mfma_f32_32x32x8_bf16 v[96:111], v[192:193], v[80:81], v[96:111]// 000000006630: D3E00060 0582A1C0
	v_max3_f32 v25, v64, v65, v28                              // 000000006638: D1D30019 04728340
	v_max3_f32 v25, v66, v67, v25                              // 000000006640: D1D30019 04668742
	v_max3_f32 v25, v68, v69, v25                              // 000000006648: D1D30019 04668B44
	v_max3_f32 v25, v70, v71, v25                              // 000000006650: D1D30019 04668F46
	v_max3_f32 v25, v72, v73, v25                              // 000000006658: D1D30019 04669348
	v_max3_f32 v25, v74, v75, v25                              // 000000006660: D1D30019 0466974A
	v_max3_f32 v25, v76, v77, v25                              // 000000006668: D1D30019 04669B4C
	v_mfma_f32_32x32x8_bf16 v[96:111], v[194:195], v[82:83], v[96:111]// 000000006670: D3E00060 0582A5C2
	v_max3_f32 v25, v78, v79, v25                              // 000000006678: D1D30019 04669F4E
	ds_permute_b32 v24, v32, v25                               // 000000006680: D87C0000 18001920
	v_mfma_f32_32x32x8_bf16 v[96:111], v[196:197], v[84:85], v[96:111]// 000000006688: D3E00060 0582A9C4
	v_nop                                                      // 000000006690: 7E000000
	s_nop 0                                                    // 000000006694: BF800000
	v_mfma_f32_32x32x8_bf16 v[96:111], v[198:199], v[86:87], v[96:111]// 000000006698: D3E00060 0582ADC6
	v_nop                                                      // 0000000066A0: 7E000000
	v_mfma_f32_32x32x8_bf16 v[112:127], v[200:201], v[80:81], v[112:127]// 0000000066A4: D3E00070 05C2A1C8
	s_waitcnt lgkmcnt(0)                                       // 0000000066AC: BF8CC07F
	v_max_f32_e32 v25, v24, v25                                // 0000000066B0: 16323318
	v_sub_f32_e32 v20, v28, v25                                // 0000000066B4: 0428331C
	v_mov_b32_e32 v28, v25                                     // 0000000066B8: 7E380319
	v_mul_f32_e32 v27, s56, v25                                // 0000000066BC: 0A363238
	v_mul_f32_e32 v20, s56, v20                                // 0000000066C0: 0A282838
	v_mfma_f32_32x32x8_bf16 v[112:127], v[202:203], v[82:83], v[112:127]// 0000000066C4: D3E00070 05C2A5CA
	v_exp_f32_e32 v20, v20                                     // 0000000066CC: 7E284114
	v_fma_f32 v64, v64, s56, -v27                              // 0000000066D0: D1CB0040 846C7140
	v_fma_f32 v65, v65, s56, -v27                              // 0000000066D8: D1CB0041 846C7141
	v_fma_f32 v66, v66, s56, -v27                              // 0000000066E0: D1CB0042 846C7142
	v_mfma_f32_32x32x8_bf16 v[112:127], v[204:205], v[84:85], v[112:127]// 0000000066E8: D3E00070 05C2A9CC
	v_fma_f32 v67, v67, s56, -v27                              // 0000000066F0: D1CB0043 846C7143
	v_fma_f32 v68, v68, s56, -v27                              // 0000000066F8: D1CB0044 846C7144
	v_fma_f32 v69, v69, s56, -v27                              // 000000006700: D1CB0045 846C7145
	v_fma_f32 v70, v70, s56, -v27                              // 000000006708: D1CB0046 846C7146
	v_fma_f32 v71, v71, s56, -v27                              // 000000006710: D1CB0047 846C7147
	v_fma_f32 v72, v72, s56, -v27                              // 000000006718: D1CB0048 846C7148
	v_fma_f32 v73, v73, s56, -v27                              // 000000006720: D1CB0049 846C7149
	v_mfma_f32_32x32x8_bf16 v[112:127], v[206:207], v[86:87], v[112:127]// 000000006728: D3E00070 05C2ADCE
	v_fma_f32 v74, v74, s56, -v27                              // 000000006730: D1CB004A 846C714A
	v_fma_f32 v75, v75, s56, -v27                              // 000000006738: D1CB004B 846C714B
	v_fma_f32 v76, v76, s56, -v27                              // 000000006740: D1CB004C 846C714C
	v_fma_f32 v77, v77, s56, -v27                              // 000000006748: D1CB004D 846C714D
	v_fma_f32 v78, v78, s56, -v27                              // 000000006750: D1CB004E 846C714E
	v_fma_f32 v79, v79, s56, -v27                              // 000000006758: D1CB004F 846C714F
	v_exp_f32_e32 v64, v64                                     // 000000006760: 7E804140
	v_mfma_f32_32x32x8_bf16 v[128:143], v[208:209], v[80:81], v[128:143]// 000000006764: D3E00080 0602A1D0
	v_exp_f32_e32 v65, v65                                     // 00000000676C: 7E824141
	v_exp_f32_e32 v66, v66                                     // 000000006770: 7E844142
	v_mfma_f32_32x32x8_bf16 v[128:143], v[210:211], v[82:83], v[128:143]// 000000006774: D3E00080 0602A5D2
	v_exp_f32_e32 v67, v67                                     // 00000000677C: 7E864143
	v_exp_f32_e32 v68, v68                                     // 000000006780: 7E884144
	v_mfma_f32_32x32x8_bf16 v[128:143], v[212:213], v[84:85], v[128:143]// 000000006784: D3E00080 0602A9D4
	v_exp_f32_e32 v69, v69                                     // 00000000678C: 7E8A4145
	v_exp_f32_e32 v70, v70                                     // 000000006790: 7E8C4146
	v_mfma_f32_32x32x8_bf16 v[128:143], v[214:215], v[86:87], v[128:143]// 000000006794: D3E00080 0602ADD6
	v_exp_f32_e32 v71, v71                                     // 00000000679C: 7E8E4147
	v_exp_f32_e32 v72, v72                                     // 0000000067A0: 7E904148
	v_mfma_f32_32x32x8_bf16 v[144:159], v[216:217], v[80:81], v[144:159]// 0000000067A4: D3E00090 0642A1D8
	v_exp_f32_e32 v73, v73                                     // 0000000067AC: 7E924149
	v_exp_f32_e32 v74, v74                                     // 0000000067B0: 7E94414A
	v_mfma_f32_32x32x8_bf16 v[144:159], v[218:219], v[82:83], v[144:159]// 0000000067B4: D3E00090 0642A5DA
	v_exp_f32_e32 v75, v75                                     // 0000000067BC: 7E96414B
	v_exp_f32_e32 v76, v76                                     // 0000000067C0: 7E98414C
	v_mfma_f32_32x32x8_bf16 v[144:159], v[220:221], v[84:85], v[144:159]// 0000000067C4: D3E00090 0642A9DC
	v_exp_f32_e32 v77, v77                                     // 0000000067CC: 7E9A414D
	v_exp_f32_e32 v78, v78                                     // 0000000067D0: 7E9C414E
	v_mfma_f32_32x32x8_bf16 v[144:159], v[222:223], v[86:87], v[144:159]// 0000000067D4: D3E00090 0642ADDE
	v_nop                                                      // 0000000067DC: 7E000000
	s_cbranch_scc0 label_0D3A                                  // 0000000067E0: BF840001
	s_branch label_08A3                                        // 0000000067E4: BF82FB69

00000000000067e8 <label_0D3A>:
	s_add_u32 s40, s38, 31                                     // 0000000067E8: 80289F26
	s_lshr_b32 s40, s40, 5                                     // 0000000067EC: 8F288528
	s_and_b32 s40, 1, s40                                      // 0000000067F0: 86282881
	s_cmp_lt_i32 s40, 1                                        // 0000000067F4: BF048128
	s_cbranch_scc0 label_0E53                                  // 0000000067F8: BF840114
	s_waitcnt vmcnt(4)                                         // 0000000067FC: BF8C0F74
	s_barrier                                                  // 000000006800: BF8A0000
	v_perm_b32 v232, v229, v228, s50                           // 000000006804: D1ED00E8 00CBC9E5
	v_perm_b32 v234, v229, v228, s49                           // 00000000680C: D1ED00EA 00C7C9E5
	v_perm_b32 v233, v231, v230, s50                           // 000000006814: D1ED00E9 00CBCDE7
	v_perm_b32 v235, v231, v230, s49                           // 00000000681C: D1ED00EB 00C7CDE7
	ds_write_b64 v14, v[232:233] offset:17408                  // 000000006824: D89A4400 0000E80E
	ds_write_b64 v14, v[234:235] offset:21568                  // 00000000682C: D89A5440 0000EA0E
	s_waitcnt lgkmcnt(0)                                       // 000000006834: BF8CC07F
	s_barrier                                                  // 000000006838: BF8A0000
	ds_read_b64 v[192:193], v13 offset:17408                   // 00000000683C: D8EC4400 C000000D
	ds_read_b64 v[194:195], v13 offset:18432                   // 000000006844: D8EC4800 C200000D
	ds_read_b64 v[196:197], v13 offset:19456                   // 00000000684C: D8EC4C00 C400000D
	ds_read_b64 v[198:199], v13 offset:20480                   // 000000006854: D8EC5000 C600000D
	ds_read_b64 v[200:201], v13 offset:17536                   // 00000000685C: D8EC4480 C800000D
	ds_read_b64 v[202:203], v13 offset:18560                   // 000000006864: D8EC4880 CA00000D
	ds_read_b64 v[204:205], v13 offset:19584                   // 00000000686C: D8EC4C80 CC00000D
	ds_read_b64 v[206:207], v13 offset:20608                   // 000000006874: D8EC5080 CE00000D
	ds_read_b64 v[208:209], v13 offset:17664                   // 00000000687C: D8EC4500 D000000D
	ds_read_b64 v[210:211], v13 offset:18688                   // 000000006884: D8EC4900 D200000D
	ds_read_b64 v[212:213], v13 offset:19712                   // 00000000688C: D8EC4D00 D400000D
	ds_read_b64 v[214:215], v13 offset:20736                   // 000000006894: D8EC5100 D600000D
	ds_read_b64 v[216:217], v13 offset:17792                   // 00000000689C: D8EC4580 D800000D
	ds_read_b64 v[218:219], v13 offset:18816                   // 0000000068A4: D8EC4980 DA00000D
	ds_read_b64 v[220:221], v13 offset:19840                   // 0000000068AC: D8EC4D80 DC00000D
	ds_read_b64 v[222:223], v13 offset:20864                   // 0000000068B4: D8EC5180 DE00000D
	v_exp_f32_e32 v95, v95                                     // 0000000068BC: 7EBE415F
	v_mul_f32_e32 v22, v20, v22                                // 0000000068C0: 0A2C2D14
	v_add_f32_e32 v38, v81, v80                                // 0000000068C4: 024CA151
	v_add_f32_e32 v38, v82, v38                                // 0000000068C8: 024C4D52
	v_add_f32_e32 v38, v83, v38                                // 0000000068CC: 024C4D53
	v_add_f32_e32 v38, v84, v38                                // 0000000068D0: 024C4D54
	v_add_f32_e32 v38, v85, v38                                // 0000000068D4: 024C4D55
	v_add_f32_e32 v38, v86, v38                                // 0000000068D8: 024C4D56
	v_add_f32_e32 v38, v87, v38                                // 0000000068DC: 024C4D57
	v_add_f32_e32 v38, v88, v38                                // 0000000068E0: 024C4D58
	v_add_f32_e32 v38, v89, v38                                // 0000000068E4: 024C4D59
	v_add_f32_e32 v38, v90, v38                                // 0000000068E8: 024C4D5A
	v_add_f32_e32 v38, v91, v38                                // 0000000068EC: 024C4D5B
	v_add_f32_e32 v38, v92, v38                                // 0000000068F0: 024C4D5C
	v_add_f32_e32 v38, v93, v38                                // 0000000068F4: 024C4D5D
	v_add_f32_e32 v38, v94, v38                                // 0000000068F8: 024C4D5E
	v_add_f32_e32 v38, v95, v38                                // 0000000068FC: 024C4D5F
	v_add_f32_e32 v22, v38, v22                                // 000000006900: 022C2D26
	v_mul_f32_e32 v96, v20, v96                                // 000000006904: 0AC0C114
	v_mul_f32_e32 v97, v20, v97                                // 000000006908: 0AC2C314
	v_mul_f32_e32 v98, v20, v98                                // 00000000690C: 0AC4C514
	v_mul_f32_e32 v99, v20, v99                                // 000000006910: 0AC6C714
	v_mul_f32_e32 v100, v20, v100                              // 000000006914: 0AC8C914
	v_mul_f32_e32 v101, v20, v101                              // 000000006918: 0ACACB14
	v_mul_f32_e32 v102, v20, v102                              // 00000000691C: 0ACCCD14
	v_mul_f32_e32 v103, v20, v103                              // 000000006920: 0ACECF14
	v_mul_f32_e32 v104, v20, v104                              // 000000006924: 0AD0D114
	v_mul_f32_e32 v105, v20, v105                              // 000000006928: 0AD2D314
	v_mul_f32_e32 v106, v20, v106                              // 00000000692C: 0AD4D514
	v_mul_f32_e32 v107, v20, v107                              // 000000006930: 0AD6D714
	v_mul_f32_e32 v108, v20, v108                              // 000000006934: 0AD8D914
	v_mul_f32_e32 v109, v20, v109                              // 000000006938: 0ADADB14
	v_mul_f32_e32 v110, v20, v110                              // 00000000693C: 0ADCDD14
	v_mul_f32_e32 v111, v20, v111                              // 000000006940: 0ADEDF14
	v_mul_f32_e32 v112, v20, v112                              // 000000006944: 0AE0E114
	v_mul_f32_e32 v113, v20, v113                              // 000000006948: 0AE2E314
	v_mul_f32_e32 v114, v20, v114                              // 00000000694C: 0AE4E514
	v_mul_f32_e32 v115, v20, v115                              // 000000006950: 0AE6E714
	v_mul_f32_e32 v116, v20, v116                              // 000000006954: 0AE8E914
	v_mul_f32_e32 v117, v20, v117                              // 000000006958: 0AEAEB14
	v_mul_f32_e32 v118, v20, v118                              // 00000000695C: 0AECED14
	v_mul_f32_e32 v119, v20, v119                              // 000000006960: 0AEEEF14
	v_mul_f32_e32 v120, v20, v120                              // 000000006964: 0AF0F114
	v_mul_f32_e32 v121, v20, v121                              // 000000006968: 0AF2F314
	v_mul_f32_e32 v122, v20, v122                              // 00000000696C: 0AF4F514
	v_mul_f32_e32 v123, v20, v123                              // 000000006970: 0AF6F714
	v_mul_f32_e32 v124, v20, v124                              // 000000006974: 0AF8F914
	v_mul_f32_e32 v125, v20, v125                              // 000000006978: 0AFAFB14
	v_mul_f32_e32 v126, v20, v126                              // 00000000697C: 0AFCFD14
	v_mul_f32_e32 v127, v20, v127                              // 000000006980: 0AFEFF14
	v_mul_f32_e32 v128, v20, v128                              // 000000006984: 0B010114
	v_mul_f32_e32 v129, v20, v129                              // 000000006988: 0B030314
	v_mul_f32_e32 v130, v20, v130                              // 00000000698C: 0B050514
	v_mul_f32_e32 v131, v20, v131                              // 000000006990: 0B070714
	v_mul_f32_e32 v132, v20, v132                              // 000000006994: 0B090914
	v_mul_f32_e32 v133, v20, v133                              // 000000006998: 0B0B0B14
	v_mul_f32_e32 v134, v20, v134                              // 00000000699C: 0B0D0D14
	v_mul_f32_e32 v135, v20, v135                              // 0000000069A0: 0B0F0F14
	v_mul_f32_e32 v136, v20, v136                              // 0000000069A4: 0B111114
	v_mul_f32_e32 v137, v20, v137                              // 0000000069A8: 0B131314
	v_mul_f32_e32 v138, v20, v138                              // 0000000069AC: 0B151514
	v_mul_f32_e32 v139, v20, v139                              // 0000000069B0: 0B171714
	v_mul_f32_e32 v140, v20, v140                              // 0000000069B4: 0B191914
	v_mul_f32_e32 v141, v20, v141                              // 0000000069B8: 0B1B1B14
	v_mul_f32_e32 v142, v20, v142                              // 0000000069BC: 0B1D1D14
	v_mul_f32_e32 v143, v20, v143                              // 0000000069C0: 0B1F1F14
	v_mul_f32_e32 v144, v20, v144                              // 0000000069C4: 0B212114
	v_mul_f32_e32 v145, v20, v145                              // 0000000069C8: 0B232314
	v_mul_f32_e32 v146, v20, v146                              // 0000000069CC: 0B252514
	v_mul_f32_e32 v147, v20, v147                              // 0000000069D0: 0B272714
	v_mul_f32_e32 v148, v20, v148                              // 0000000069D4: 0B292914
	v_mul_f32_e32 v149, v20, v149                              // 0000000069D8: 0B2B2B14
	v_mul_f32_e32 v150, v20, v150                              // 0000000069DC: 0B2D2D14
	v_mul_f32_e32 v151, v20, v151                              // 0000000069E0: 0B2F2F14
	v_mul_f32_e32 v152, v20, v152                              // 0000000069E4: 0B313114
	v_mul_f32_e32 v153, v20, v153                              // 0000000069E8: 0B333314
	v_mul_f32_e32 v154, v20, v154                              // 0000000069EC: 0B353514
	v_mul_f32_e32 v155, v20, v155                              // 0000000069F0: 0B373714
	v_mul_f32_e32 v156, v20, v156                              // 0000000069F4: 0B393914
	v_mul_f32_e32 v157, v20, v157                              // 0000000069F8: 0B3B3B14
	v_mul_f32_e32 v158, v20, v158                              // 0000000069FC: 0B3D3D14
	v_mul_f32_e32 v159, v20, v159                              // 000000006A00: 0B3F3F14
	v_cmp_u_f32_e64 s[70:71], v80, v80                         // 000000006A04: D0480046 0002A150
	v_add3_u32 v40, v80, v43, 1                                // 000000006A0C: D1FF0028 02065750
	v_cndmask_b32_e64 v16, v40, v42, s[70:71]                  // 000000006A14: D1000010 011A5528
	v_cmp_u_f32_e64 s[70:71], v81, v81                         // 000000006A1C: D0480046 0002A351
	v_add3_u32 v40, v81, v43, 1                                // 000000006A24: D1FF0028 02065751
	v_cndmask_b32_e64 v17, v40, v42, s[70:71]                  // 000000006A2C: D1000011 011A5528
	v_perm_b32 v80, v17, v16, s49                              // 000000006A34: D1ED0050 00C62111
	v_cmp_u_f32_e64 s[70:71], v82, v82                         // 000000006A3C: D0480046 0002A552
	v_add3_u32 v40, v82, v43, 1                                // 000000006A44: D1FF0028 02065752
	v_cndmask_b32_e64 v16, v40, v42, s[70:71]                  // 000000006A4C: D1000010 011A5528
	v_cmp_u_f32_e64 s[70:71], v83, v83                         // 000000006A54: D0480046 0002A753
	v_add3_u32 v40, v83, v43, 1                                // 000000006A5C: D1FF0028 02065753
	v_cndmask_b32_e64 v17, v40, v42, s[70:71]                  // 000000006A64: D1000011 011A5528
	v_perm_b32 v81, v17, v16, s49                              // 000000006A6C: D1ED0051 00C62111
	v_cmp_u_f32_e64 s[70:71], v84, v84                         // 000000006A74: D0480046 0002A954
	v_add3_u32 v40, v84, v43, 1                                // 000000006A7C: D1FF0028 02065754
	v_cndmask_b32_e64 v16, v40, v42, s[70:71]                  // 000000006A84: D1000010 011A5528
	v_cmp_u_f32_e64 s[70:71], v85, v85                         // 000000006A8C: D0480046 0002AB55
	v_add3_u32 v40, v85, v43, 1                                // 000000006A94: D1FF0028 02065755
	v_cndmask_b32_e64 v17, v40, v42, s[70:71]                  // 000000006A9C: D1000011 011A5528
	v_perm_b32 v82, v17, v16, s49                              // 000000006AA4: D1ED0052 00C62111
	v_cmp_u_f32_e64 s[70:71], v86, v86                         // 000000006AAC: D0480046 0002AD56
	v_add3_u32 v40, v86, v43, 1                                // 000000006AB4: D1FF0028 02065756
	v_cndmask_b32_e64 v16, v40, v42, s[70:71]                  // 000000006ABC: D1000010 011A5528
	v_cmp_u_f32_e64 s[70:71], v87, v87                         // 000000006AC4: D0480046 0002AF57
	v_add3_u32 v40, v87, v43, 1                                // 000000006ACC: D1FF0028 02065757
	v_cndmask_b32_e64 v17, v40, v42, s[70:71]                  // 000000006AD4: D1000011 011A5528
	v_perm_b32 v83, v17, v16, s49                              // 000000006ADC: D1ED0053 00C62111
	v_cmp_u_f32_e64 s[70:71], v88, v88                         // 000000006AE4: D0480046 0002B158
	v_add3_u32 v40, v88, v43, 1                                // 000000006AEC: D1FF0028 02065758
	v_cndmask_b32_e64 v16, v40, v42, s[70:71]                  // 000000006AF4: D1000010 011A5528
	v_cmp_u_f32_e64 s[70:71], v89, v89                         // 000000006AFC: D0480046 0002B359
	v_add3_u32 v40, v89, v43, 1                                // 000000006B04: D1FF0028 02065759
	v_cndmask_b32_e64 v17, v40, v42, s[70:71]                  // 000000006B0C: D1000011 011A5528
	v_perm_b32 v84, v17, v16, s49                              // 000000006B14: D1ED0054 00C62111
	v_cmp_u_f32_e64 s[70:71], v90, v90                         // 000000006B1C: D0480046 0002B55A
	v_add3_u32 v40, v90, v43, 1                                // 000000006B24: D1FF0028 0206575A
	v_cndmask_b32_e64 v16, v40, v42, s[70:71]                  // 000000006B2C: D1000010 011A5528
	v_cmp_u_f32_e64 s[70:71], v91, v91                         // 000000006B34: D0480046 0002B75B
	v_add3_u32 v40, v91, v43, 1                                // 000000006B3C: D1FF0028 0206575B
	v_cndmask_b32_e64 v17, v40, v42, s[70:71]                  // 000000006B44: D1000011 011A5528
	v_perm_b32 v85, v17, v16, s49                              // 000000006B4C: D1ED0055 00C62111
	v_cmp_u_f32_e64 s[70:71], v92, v92                         // 000000006B54: D0480046 0002B95C
	v_add3_u32 v40, v92, v43, 1                                // 000000006B5C: D1FF0028 0206575C
	v_cndmask_b32_e64 v16, v40, v42, s[70:71]                  // 000000006B64: D1000010 011A5528
	v_cmp_u_f32_e64 s[70:71], v93, v93                         // 000000006B6C: D0480046 0002BB5D
	v_add3_u32 v40, v93, v43, 1                                // 000000006B74: D1FF0028 0206575D
	v_cndmask_b32_e64 v17, v40, v42, s[70:71]                  // 000000006B7C: D1000011 011A5528
	v_perm_b32 v86, v17, v16, s49                              // 000000006B84: D1ED0056 00C62111
	v_cmp_u_f32_e64 s[70:71], v94, v94                         // 000000006B8C: D0480046 0002BD5E
	v_add3_u32 v40, v94, v43, 1                                // 000000006B94: D1FF0028 0206575E
	v_cndmask_b32_e64 v16, v40, v42, s[70:71]                  // 000000006B9C: D1000010 011A5528
	v_cmp_u_f32_e64 s[70:71], v95, v95                         // 000000006BA4: D0480046 0002BF5F
	v_add3_u32 v40, v95, v43, 1                                // 000000006BAC: D1FF0028 0206575F
	v_cndmask_b32_e64 v17, v40, v42, s[70:71]                  // 000000006BB4: D1000011 011A5528
	v_perm_b32 v87, v17, v16, s49                              // 000000006BBC: D1ED0057 00C62111
	s_waitcnt lgkmcnt(0)                                       // 000000006BC4: BF8CC07F
	v_mfma_f32_32x32x8_bf16 v[96:111], v[192:193], v[80:81], v[96:111]// 000000006BC8: D3E00060 0582A1C0
	v_mfma_f32_32x32x8_bf16 v[96:111], v[194:195], v[82:83], v[96:111]// 000000006BD0: D3E00060 0582A5C2
	v_mfma_f32_32x32x8_bf16 v[96:111], v[196:197], v[84:85], v[96:111]// 000000006BD8: D3E00060 0582A9C4
	v_mfma_f32_32x32x8_bf16 v[96:111], v[198:199], v[86:87], v[96:111]// 000000006BE0: D3E00060 0582ADC6
	v_mfma_f32_32x32x8_bf16 v[112:127], v[200:201], v[80:81], v[112:127]// 000000006BE8: D3E00070 05C2A1C8
	v_mfma_f32_32x32x8_bf16 v[112:127], v[202:203], v[82:83], v[112:127]// 000000006BF0: D3E00070 05C2A5CA
	v_mfma_f32_32x32x8_bf16 v[112:127], v[204:205], v[84:85], v[112:127]// 000000006BF8: D3E00070 05C2A9CC
	v_mfma_f32_32x32x8_bf16 v[112:127], v[206:207], v[86:87], v[112:127]// 000000006C00: D3E00070 05C2ADCE
	v_mfma_f32_32x32x8_bf16 v[128:143], v[208:209], v[80:81], v[128:143]// 000000006C08: D3E00080 0602A1D0
	v_mfma_f32_32x32x8_bf16 v[128:143], v[210:211], v[82:83], v[128:143]// 000000006C10: D3E00080 0602A5D2
	v_mfma_f32_32x32x8_bf16 v[128:143], v[212:213], v[84:85], v[128:143]// 000000006C18: D3E00080 0602A9D4
	v_mfma_f32_32x32x8_bf16 v[128:143], v[214:215], v[86:87], v[128:143]// 000000006C20: D3E00080 0602ADD6
	v_mfma_f32_32x32x8_bf16 v[144:159], v[216:217], v[80:81], v[144:159]// 000000006C28: D3E00090 0642A1D8
	v_mfma_f32_32x32x8_bf16 v[144:159], v[218:219], v[82:83], v[144:159]// 000000006C30: D3E00090 0642A5DA
	v_mfma_f32_32x32x8_bf16 v[144:159], v[220:221], v[84:85], v[144:159]// 000000006C38: D3E00090 0642A9DC
	v_mfma_f32_32x32x8_bf16 v[144:159], v[222:223], v[86:87], v[144:159]// 000000006C40: D3E00090 0642ADDE
	s_branch label_0F66                                        // 000000006C48: BF820113

0000000000006c4c <label_0E53>:
	s_waitcnt vmcnt(4)                                         // 000000006C4C: BF8C0F74
	s_barrier                                                  // 000000006C50: BF8A0000
	v_perm_b32 v232, v225, v224, s50                           // 000000006C54: D1ED00E8 00CBC1E1
	v_perm_b32 v234, v225, v224, s49                           // 000000006C5C: D1ED00EA 00C7C1E1
	v_perm_b32 v233, v227, v226, s50                           // 000000006C64: D1ED00E9 00CBC5E3
	v_perm_b32 v235, v227, v226, s49                           // 000000006C6C: D1ED00EB 00C7C5E3
	ds_write_b64 v14, v[232:233] offset:17408                  // 000000006C74: D89A4400 0000E80E
	ds_write_b64 v14, v[234:235] offset:21568                  // 000000006C7C: D89A5440 0000EA0E
	s_waitcnt lgkmcnt(0)                                       // 000000006C84: BF8CC07F
	s_barrier                                                  // 000000006C88: BF8A0000
	ds_read_b64 v[192:193], v13 offset:17408                   // 000000006C8C: D8EC4400 C000000D
	ds_read_b64 v[194:195], v13 offset:18432                   // 000000006C94: D8EC4800 C200000D
	ds_read_b64 v[196:197], v13 offset:19456                   // 000000006C9C: D8EC4C00 C400000D
	ds_read_b64 v[198:199], v13 offset:20480                   // 000000006CA4: D8EC5000 C600000D
	ds_read_b64 v[200:201], v13 offset:17536                   // 000000006CAC: D8EC4480 C800000D
	ds_read_b64 v[202:203], v13 offset:18560                   // 000000006CB4: D8EC4880 CA00000D
	ds_read_b64 v[204:205], v13 offset:19584                   // 000000006CBC: D8EC4C80 CC00000D
	ds_read_b64 v[206:207], v13 offset:20608                   // 000000006CC4: D8EC5080 CE00000D
	ds_read_b64 v[208:209], v13 offset:17664                   // 000000006CCC: D8EC4500 D000000D
	ds_read_b64 v[210:211], v13 offset:18688                   // 000000006CD4: D8EC4900 D200000D
	ds_read_b64 v[212:213], v13 offset:19712                   // 000000006CDC: D8EC4D00 D400000D
	ds_read_b64 v[214:215], v13 offset:20736                   // 000000006CE4: D8EC5100 D600000D
	ds_read_b64 v[216:217], v13 offset:17792                   // 000000006CEC: D8EC4580 D800000D
	ds_read_b64 v[218:219], v13 offset:18816                   // 000000006CF4: D8EC4980 DA00000D
	ds_read_b64 v[220:221], v13 offset:19840                   // 000000006CFC: D8EC4D80 DC00000D
	ds_read_b64 v[222:223], v13 offset:20864                   // 000000006D04: D8EC5180 DE00000D
	v_exp_f32_e32 v79, v79                                     // 000000006D0C: 7E9E414F
	v_mul_f32_e32 v22, v20, v22                                // 000000006D10: 0A2C2D14
	v_add_f32_e32 v38, v65, v64                                // 000000006D14: 024C8141
	v_add_f32_e32 v38, v66, v38                                // 000000006D18: 024C4D42
	v_add_f32_e32 v38, v67, v38                                // 000000006D1C: 024C4D43
	v_add_f32_e32 v38, v68, v38                                // 000000006D20: 024C4D44
	v_add_f32_e32 v38, v69, v38                                // 000000006D24: 024C4D45
	v_add_f32_e32 v38, v70, v38                                // 000000006D28: 024C4D46
	v_add_f32_e32 v38, v71, v38                                // 000000006D2C: 024C4D47
	v_add_f32_e32 v38, v72, v38                                // 000000006D30: 024C4D48
	v_add_f32_e32 v38, v73, v38                                // 000000006D34: 024C4D49
	v_add_f32_e32 v38, v74, v38                                // 000000006D38: 024C4D4A
	v_add_f32_e32 v38, v75, v38                                // 000000006D3C: 024C4D4B
	v_add_f32_e32 v38, v76, v38                                // 000000006D40: 024C4D4C
	v_add_f32_e32 v38, v77, v38                                // 000000006D44: 024C4D4D
	v_add_f32_e32 v38, v78, v38                                // 000000006D48: 024C4D4E
	v_add_f32_e32 v38, v79, v38                                // 000000006D4C: 024C4D4F
	v_add_f32_e32 v22, v38, v22                                // 000000006D50: 022C2D26
	v_mul_f32_e32 v96, v20, v96                                // 000000006D54: 0AC0C114
	v_mul_f32_e32 v97, v20, v97                                // 000000006D58: 0AC2C314
	v_mul_f32_e32 v98, v20, v98                                // 000000006D5C: 0AC4C514
	v_mul_f32_e32 v99, v20, v99                                // 000000006D60: 0AC6C714
	v_mul_f32_e32 v100, v20, v100                              // 000000006D64: 0AC8C914
	v_mul_f32_e32 v101, v20, v101                              // 000000006D68: 0ACACB14
	v_mul_f32_e32 v102, v20, v102                              // 000000006D6C: 0ACCCD14
	v_mul_f32_e32 v103, v20, v103                              // 000000006D70: 0ACECF14
	v_mul_f32_e32 v104, v20, v104                              // 000000006D74: 0AD0D114
	v_mul_f32_e32 v105, v20, v105                              // 000000006D78: 0AD2D314
	v_mul_f32_e32 v106, v20, v106                              // 000000006D7C: 0AD4D514
	v_mul_f32_e32 v107, v20, v107                              // 000000006D80: 0AD6D714
	v_mul_f32_e32 v108, v20, v108                              // 000000006D84: 0AD8D914
	v_mul_f32_e32 v109, v20, v109                              // 000000006D88: 0ADADB14
	v_mul_f32_e32 v110, v20, v110                              // 000000006D8C: 0ADCDD14
	v_mul_f32_e32 v111, v20, v111                              // 000000006D90: 0ADEDF14
	v_mul_f32_e32 v112, v20, v112                              // 000000006D94: 0AE0E114
	v_mul_f32_e32 v113, v20, v113                              // 000000006D98: 0AE2E314
	v_mul_f32_e32 v114, v20, v114                              // 000000006D9C: 0AE4E514
	v_mul_f32_e32 v115, v20, v115                              // 000000006DA0: 0AE6E714
	v_mul_f32_e32 v116, v20, v116                              // 000000006DA4: 0AE8E914
	v_mul_f32_e32 v117, v20, v117                              // 000000006DA8: 0AEAEB14
	v_mul_f32_e32 v118, v20, v118                              // 000000006DAC: 0AECED14
	v_mul_f32_e32 v119, v20, v119                              // 000000006DB0: 0AEEEF14
	v_mul_f32_e32 v120, v20, v120                              // 000000006DB4: 0AF0F114
	v_mul_f32_e32 v121, v20, v121                              // 000000006DB8: 0AF2F314
	v_mul_f32_e32 v122, v20, v122                              // 000000006DBC: 0AF4F514
	v_mul_f32_e32 v123, v20, v123                              // 000000006DC0: 0AF6F714
	v_mul_f32_e32 v124, v20, v124                              // 000000006DC4: 0AF8F914
	v_mul_f32_e32 v125, v20, v125                              // 000000006DC8: 0AFAFB14
	v_mul_f32_e32 v126, v20, v126                              // 000000006DCC: 0AFCFD14
	v_mul_f32_e32 v127, v20, v127                              // 000000006DD0: 0AFEFF14
	v_mul_f32_e32 v128, v20, v128                              // 000000006DD4: 0B010114
	v_mul_f32_e32 v129, v20, v129                              // 000000006DD8: 0B030314
	v_mul_f32_e32 v130, v20, v130                              // 000000006DDC: 0B050514
	v_mul_f32_e32 v131, v20, v131                              // 000000006DE0: 0B070714
	v_mul_f32_e32 v132, v20, v132                              // 000000006DE4: 0B090914
	v_mul_f32_e32 v133, v20, v133                              // 000000006DE8: 0B0B0B14
	v_mul_f32_e32 v134, v20, v134                              // 000000006DEC: 0B0D0D14
	v_mul_f32_e32 v135, v20, v135                              // 000000006DF0: 0B0F0F14
	v_mul_f32_e32 v136, v20, v136                              // 000000006DF4: 0B111114
	v_mul_f32_e32 v137, v20, v137                              // 000000006DF8: 0B131314
	v_mul_f32_e32 v138, v20, v138                              // 000000006DFC: 0B151514
	v_mul_f32_e32 v139, v20, v139                              // 000000006E00: 0B171714
	v_mul_f32_e32 v140, v20, v140                              // 000000006E04: 0B191914
	v_mul_f32_e32 v141, v20, v141                              // 000000006E08: 0B1B1B14
	v_mul_f32_e32 v142, v20, v142                              // 000000006E0C: 0B1D1D14
	v_mul_f32_e32 v143, v20, v143                              // 000000006E10: 0B1F1F14
	v_mul_f32_e32 v144, v20, v144                              // 000000006E14: 0B212114
	v_mul_f32_e32 v145, v20, v145                              // 000000006E18: 0B232314
	v_mul_f32_e32 v146, v20, v146                              // 000000006E1C: 0B252514
	v_mul_f32_e32 v147, v20, v147                              // 000000006E20: 0B272714
	v_mul_f32_e32 v148, v20, v148                              // 000000006E24: 0B292914
	v_mul_f32_e32 v149, v20, v149                              // 000000006E28: 0B2B2B14
	v_mul_f32_e32 v150, v20, v150                              // 000000006E2C: 0B2D2D14
	v_mul_f32_e32 v151, v20, v151                              // 000000006E30: 0B2F2F14
	v_mul_f32_e32 v152, v20, v152                              // 000000006E34: 0B313114
	v_mul_f32_e32 v153, v20, v153                              // 000000006E38: 0B333314
	v_mul_f32_e32 v154, v20, v154                              // 000000006E3C: 0B353514
	v_mul_f32_e32 v155, v20, v155                              // 000000006E40: 0B373714
	v_mul_f32_e32 v156, v20, v156                              // 000000006E44: 0B393914
	v_mul_f32_e32 v157, v20, v157                              // 000000006E48: 0B3B3B14
	v_mul_f32_e32 v158, v20, v158                              // 000000006E4C: 0B3D3D14
	v_mul_f32_e32 v159, v20, v159                              // 000000006E50: 0B3F3F14
	v_cmp_u_f32_e64 s[70:71], v64, v64                         // 000000006E54: D0480046 00028140
	v_add3_u32 v40, v64, v43, 1                                // 000000006E5C: D1FF0028 02065740
	v_cndmask_b32_e64 v16, v40, v42, s[70:71]                  // 000000006E64: D1000010 011A5528
	v_cmp_u_f32_e64 s[70:71], v65, v65                         // 000000006E6C: D0480046 00028341
	v_add3_u32 v40, v65, v43, 1                                // 000000006E74: D1FF0028 02065741
	v_cndmask_b32_e64 v17, v40, v42, s[70:71]                  // 000000006E7C: D1000011 011A5528
	v_perm_b32 v64, v17, v16, s49                              // 000000006E84: D1ED0040 00C62111
	v_cmp_u_f32_e64 s[70:71], v66, v66                         // 000000006E8C: D0480046 00028542
	v_add3_u32 v40, v66, v43, 1                                // 000000006E94: D1FF0028 02065742
	v_cndmask_b32_e64 v16, v40, v42, s[70:71]                  // 000000006E9C: D1000010 011A5528
	v_cmp_u_f32_e64 s[70:71], v67, v67                         // 000000006EA4: D0480046 00028743
	v_add3_u32 v40, v67, v43, 1                                // 000000006EAC: D1FF0028 02065743
	v_cndmask_b32_e64 v17, v40, v42, s[70:71]                  // 000000006EB4: D1000011 011A5528
	v_perm_b32 v65, v17, v16, s49                              // 000000006EBC: D1ED0041 00C62111
	v_cmp_u_f32_e64 s[70:71], v68, v68                         // 000000006EC4: D0480046 00028944
	v_add3_u32 v40, v68, v43, 1                                // 000000006ECC: D1FF0028 02065744
	v_cndmask_b32_e64 v16, v40, v42, s[70:71]                  // 000000006ED4: D1000010 011A5528
	v_cmp_u_f32_e64 s[70:71], v69, v69                         // 000000006EDC: D0480046 00028B45
	v_add3_u32 v40, v69, v43, 1                                // 000000006EE4: D1FF0028 02065745
	v_cndmask_b32_e64 v17, v40, v42, s[70:71]                  // 000000006EEC: D1000011 011A5528
	v_perm_b32 v66, v17, v16, s49                              // 000000006EF4: D1ED0042 00C62111
	v_cmp_u_f32_e64 s[70:71], v70, v70                         // 000000006EFC: D0480046 00028D46
	v_add3_u32 v40, v70, v43, 1                                // 000000006F04: D1FF0028 02065746
	v_cndmask_b32_e64 v16, v40, v42, s[70:71]                  // 000000006F0C: D1000010 011A5528
	v_cmp_u_f32_e64 s[70:71], v71, v71                         // 000000006F14: D0480046 00028F47
	v_add3_u32 v40, v71, v43, 1                                // 000000006F1C: D1FF0028 02065747
	v_cndmask_b32_e64 v17, v40, v42, s[70:71]                  // 000000006F24: D1000011 011A5528
	v_perm_b32 v67, v17, v16, s49                              // 000000006F2C: D1ED0043 00C62111
	v_cmp_u_f32_e64 s[70:71], v72, v72                         // 000000006F34: D0480046 00029148
	v_add3_u32 v40, v72, v43, 1                                // 000000006F3C: D1FF0028 02065748
	v_cndmask_b32_e64 v16, v40, v42, s[70:71]                  // 000000006F44: D1000010 011A5528
	v_cmp_u_f32_e64 s[70:71], v73, v73                         // 000000006F4C: D0480046 00029349
	v_add3_u32 v40, v73, v43, 1                                // 000000006F54: D1FF0028 02065749
	v_cndmask_b32_e64 v17, v40, v42, s[70:71]                  // 000000006F5C: D1000011 011A5528
	v_perm_b32 v68, v17, v16, s49                              // 000000006F64: D1ED0044 00C62111
	v_cmp_u_f32_e64 s[70:71], v74, v74                         // 000000006F6C: D0480046 0002954A
	v_add3_u32 v40, v74, v43, 1                                // 000000006F74: D1FF0028 0206574A
	v_cndmask_b32_e64 v16, v40, v42, s[70:71]                  // 000000006F7C: D1000010 011A5528
	v_cmp_u_f32_e64 s[70:71], v75, v75                         // 000000006F84: D0480046 0002974B
	v_add3_u32 v40, v75, v43, 1                                // 000000006F8C: D1FF0028 0206574B
	v_cndmask_b32_e64 v17, v40, v42, s[70:71]                  // 000000006F94: D1000011 011A5528
	v_perm_b32 v69, v17, v16, s49                              // 000000006F9C: D1ED0045 00C62111
	v_cmp_u_f32_e64 s[70:71], v76, v76                         // 000000006FA4: D0480046 0002994C
	v_add3_u32 v40, v76, v43, 1                                // 000000006FAC: D1FF0028 0206574C
	v_cndmask_b32_e64 v16, v40, v42, s[70:71]                  // 000000006FB4: D1000010 011A5528
	v_cmp_u_f32_e64 s[70:71], v77, v77                         // 000000006FBC: D0480046 00029B4D
	v_add3_u32 v40, v77, v43, 1                                // 000000006FC4: D1FF0028 0206574D
	v_cndmask_b32_e64 v17, v40, v42, s[70:71]                  // 000000006FCC: D1000011 011A5528
	v_perm_b32 v70, v17, v16, s49                              // 000000006FD4: D1ED0046 00C62111
	v_cmp_u_f32_e64 s[70:71], v78, v78                         // 000000006FDC: D0480046 00029D4E
	v_add3_u32 v40, v78, v43, 1                                // 000000006FE4: D1FF0028 0206574E
	v_cndmask_b32_e64 v16, v40, v42, s[70:71]                  // 000000006FEC: D1000010 011A5528
	v_cmp_u_f32_e64 s[70:71], v79, v79                         // 000000006FF4: D0480046 00029F4F
	v_add3_u32 v40, v79, v43, 1                                // 000000006FFC: D1FF0028 0206574F
	v_cndmask_b32_e64 v17, v40, v42, s[70:71]                  // 000000007004: D1000011 011A5528
	v_perm_b32 v71, v17, v16, s49                              // 00000000700C: D1ED0047 00C62111
	s_waitcnt lgkmcnt(0)                                       // 000000007014: BF8CC07F
	v_mfma_f32_32x32x8_bf16 v[96:111], v[192:193], v[64:65], v[96:111]// 000000007018: D3E00060 058281C0
	v_mfma_f32_32x32x8_bf16 v[96:111], v[194:195], v[66:67], v[96:111]// 000000007020: D3E00060 058285C2
	v_mfma_f32_32x32x8_bf16 v[96:111], v[196:197], v[68:69], v[96:111]// 000000007028: D3E00060 058289C4
	v_mfma_f32_32x32x8_bf16 v[96:111], v[198:199], v[70:71], v[96:111]// 000000007030: D3E00060 05828DC6
	v_mfma_f32_32x32x8_bf16 v[112:127], v[200:201], v[64:65], v[112:127]// 000000007038: D3E00070 05C281C8
	v_mfma_f32_32x32x8_bf16 v[112:127], v[202:203], v[66:67], v[112:127]// 000000007040: D3E00070 05C285CA
	v_mfma_f32_32x32x8_bf16 v[112:127], v[204:205], v[68:69], v[112:127]// 000000007048: D3E00070 05C289CC
	v_mfma_f32_32x32x8_bf16 v[112:127], v[206:207], v[70:71], v[112:127]// 000000007050: D3E00070 05C28DCE
	v_mfma_f32_32x32x8_bf16 v[128:143], v[208:209], v[64:65], v[128:143]// 000000007058: D3E00080 060281D0
	v_mfma_f32_32x32x8_bf16 v[128:143], v[210:211], v[66:67], v[128:143]// 000000007060: D3E00080 060285D2
	v_mfma_f32_32x32x8_bf16 v[128:143], v[212:213], v[68:69], v[128:143]// 000000007068: D3E00080 060289D4
	v_mfma_f32_32x32x8_bf16 v[128:143], v[214:215], v[70:71], v[128:143]// 000000007070: D3E00080 06028DD6
	v_mfma_f32_32x32x8_bf16 v[144:159], v[216:217], v[64:65], v[144:159]// 000000007078: D3E00090 064281D8
	v_mfma_f32_32x32x8_bf16 v[144:159], v[218:219], v[66:67], v[144:159]// 000000007080: D3E00090 064285DA
	v_mfma_f32_32x32x8_bf16 v[144:159], v[220:221], v[68:69], v[144:159]// 000000007088: D3E00090 064289DC
	v_mfma_f32_32x32x8_bf16 v[144:159], v[222:223], v[70:71], v[144:159]// 000000007090: D3E00090 06428DDE

0000000000007098 <label_0F66>:
	v_cvt_f32_u32_e32 v16, s62                                 // 000000007098: 7E200C3E
	s_sub_i32 s40, 0, s62                                      // 00000000709C: 81A83E80
	v_rcp_iflag_f32_e32 v16, v16                               // 0000000070A0: 7E204710
	s_nop 0                                                    // 0000000070A4: BF800000
	v_mul_f32_e32 v16, 0x4f7ffffe, v16                         // 0000000070A8: 0A2020FF 4F7FFFFE
	v_cvt_u32_f32_e32 v16, v16                                 // 0000000070B0: 7E200F10
	v_mul_lo_u32 v17, s40, v16                                 // 0000000070B4: D2850011 00022028
	v_mul_hi_u32 v17, v16, v17                                 // 0000000070BC: D2860011 00022310
	v_add_u32_e32 v16, v16, v17                                // 0000000070C4: 68202310
	v_mul_hi_u32 v16, s63, v16                                 // 0000000070C8: D2860010 0002203F
	v_mul_lo_u32 v17, v16, s62                                 // 0000000070D0: D2850011 00007D10
	v_sub_u32_e32 v19, s63, v17                                // 0000000070D8: 6A26223F
	v_add_u32_e32 v18, 1, v16                                  // 0000000070DC: 68242081
	v_cmp_le_u32_e32 vcc, s62, v19                             // 0000000070E0: 7D96263E
	v_subrev_u32_e32 v17, s62, v19                             // 0000000070E4: 6C22263E
	s_nop 0                                                    // 0000000070E8: BF800000
	v_cndmask_b32_e32 v16, v16, v18, vcc                       // 0000000070EC: 00202510
	v_cndmask_b32_e32 v19, v19, v17, vcc                       // 0000000070F0: 00262313
	v_add_u32_e32 v17, 1, v16                                  // 0000000070F4: 68222081
	v_cmp_le_u32_e32 vcc, s62, v19                             // 0000000070F8: 7D96263E
	s_nop 1                                                    // 0000000070FC: BF800001
	v_cndmask_b32_e32 v19, v16, v17, vcc                       // 000000007100: 00262310
	s_nop 3                                                    // 000000007104: BF800003
	v_readfirstlane_b32 s63, v19                               // 000000007108: 7E7E0513
	s_nop 3                                                    // 00000000710C: BF800003
	s_mul_i32 s63, s63, s83                                    // 000000007110: 923F533F
	v_lshrrev_b32_e32 v16, 3, v0                               // 000000007114: 20200083
	v_mul_i32_i24_e32 v8, s83, v16                             // 000000007118: 0C102053
	v_and_b32_e32 v16, 7, v0                                   // 00000000711C: 26200087
	v_mul_i32_i24_e32 v16, 16, v16                             // 000000007120: 0C202090
	v_add_u32_e32 v8, v16, v8                                  // 000000007124: 68101110
	s_mul_i32 s40, s5, s83                                     // 000000007128: 92285305
	s_mul_i32 s40, s40, 32                                     // 00000000712C: 9228A028
	s_add_u32 s40, s63, s40                                    // 000000007130: 8028283F
	v_add_u32_e32 v8, s40, v8                                  // 000000007134: 68101028
	s_mul_i32 s40, s83, 8                                      // 000000007138: 92288853
	v_add_u32_e32 v9, s40, v8                                  // 00000000713C: 68121028
	v_add_u32_e32 v10, s40, v9                                 // 000000007140: 68141228
	v_add_u32_e32 v11, s40, v10                                // 000000007144: 68161428
	s_mul_i32 s40, s2, 0x100                                   // 000000007148: 9228FF02 00000100
	v_and_b32_e32 v3, 31, v0                                   // 000000007150: 2606009F
	v_add_u32_e32 v3, s40, v3                                  // 000000007154: 68060628
	s_mul_i32 s40, s5, 32                                      // 000000007158: 9228A005
	v_add_u32_e32 v3, s40, v3                                  // 00000000715C: 68060628
	v_lshlrev_b32_e32 v3, 2, v3                                // 000000007160: 24060682
	ds_permute_b32 v16, v32, v22                               // 000000007164: D87C0000 10001620
	s_waitcnt lgkmcnt(0)                                       // 00000000716C: BF8CC07F
	v_add_f32_e32 v22, v16, v22                                // 000000007170: 022C2D10
	v_mul_f32_e64 v16, v28, s28                                // 000000007174: D1050010 0000391C
	v_log_f32_e32 v17, v22                                     // 00000000717C: 7E224316
	v_cmp_eq_f32_e64 s[40:41], v22, 0                          // 000000007180: D0420028 00010116
	s_nop 1                                                    // 000000007188: BF800001
	v_rcp_f32_e32 v22, v22                                     // 00000000718C: 7E2C4516
	s_nop 1                                                    // 000000007190: BF800001
	v_cndmask_b32_e64 v22, v22, 0, s[40:41]                    // 000000007194: D1000016 00A10116
	v_fma_f32 v2, v17, s45, v16                                // 00000000719C: D1CB0002 04405B11
	v_mov_b32_e32 v23, v22                                     // 0000000071A4: 7E2E0316
	v_lshrrev_b32_e32 v16, 5, v0                               // 0000000071A8: 20200085
	v_mul_i32_i24_e32 v35, 0x42, v16                           // 0000000071AC: 0C4620FF 00000042
	v_and_b32_e32 v16, 31, v0                                  // 0000000071B4: 2620009F
	v_mul_i32_i24_e32 v16, 2, v16                              // 0000000071B8: 0C202082
	v_add_u32_e32 v35, v16, v35                                // 0000000071BC: 68464710
	s_mul_i32 s40, s5, 0x420                                   // 0000000071C0: 9228FF05 00000420
	v_add_u32_e32 v35, s40, v35                                // 0000000071C8: 68464628
	v_lshlrev_b32_e32 v35, 2, v35                              // 0000000071CC: 24464682
	v_lshrrev_b32_e32 v16, 3, v0                               // 0000000071D0: 20200083
	v_mul_i32_i24_e32 v34, 2, v16                              // 0000000071D4: 0C442082
	v_and_b32_e32 v16, 7, v0                                   // 0000000071D8: 26200087
	v_mul_i32_i24_e32 v16, 0x84, v16                           // 0000000071DC: 0C2020FF 00000084
	v_add_u32_e32 v34, v16, v34                                // 0000000071E4: 68444510
	s_mul_i32 s40, s5, 0x420                                   // 0000000071E8: 9228FF05 00000420
	v_add_u32_e32 v34, s40, v34                                // 0000000071F0: 68444428
	v_lshlrev_b32_e32 v34, 2, v34                              // 0000000071F4: 24444482
	s_waitcnt vmcnt(0) expcnt(0) lgkmcnt(0)                    // 0000000071F8: BF8C0000
	s_barrier                                                  // 0000000071FC: BF8A0000
	v_pk_mul_f32 v[96:97], v[22:23], v[96:97]                  // 000000007200: D3B14060 1802C116
	v_pk_mul_f32 v[98:99], v[22:23], v[98:99]                  // 000000007208: D3B14062 1802C516
	v_pk_mul_f32 v[100:101], v[22:23], v[100:101]              // 000000007210: D3B14064 1802C916
	v_pk_mul_f32 v[102:103], v[22:23], v[102:103]              // 000000007218: D3B14066 1802CD16
	v_pk_mul_f32 v[104:105], v[22:23], v[104:105]              // 000000007220: D3B14068 1802D116
	v_pk_mul_f32 v[106:107], v[22:23], v[106:107]              // 000000007228: D3B1406A 1802D516
	v_pk_mul_f32 v[108:109], v[22:23], v[108:109]              // 000000007230: D3B1406C 1802D916
	v_pk_mul_f32 v[110:111], v[22:23], v[110:111]              // 000000007238: D3B1406E 1802DD16
	v_pk_mul_f32 v[112:113], v[22:23], v[112:113]              // 000000007240: D3B14070 1802E116
	v_pk_mul_f32 v[114:115], v[22:23], v[114:115]              // 000000007248: D3B14072 1802E516
	v_pk_mul_f32 v[116:117], v[22:23], v[116:117]              // 000000007250: D3B14074 1802E916
	v_pk_mul_f32 v[118:119], v[22:23], v[118:119]              // 000000007258: D3B14076 1802ED16
	v_pk_mul_f32 v[120:121], v[22:23], v[120:121]              // 000000007260: D3B14078 1802F116
	v_pk_mul_f32 v[122:123], v[22:23], v[122:123]              // 000000007268: D3B1407A 1802F516
	v_pk_mul_f32 v[124:125], v[22:23], v[124:125]              // 000000007270: D3B1407C 1802F916
	v_pk_mul_f32 v[126:127], v[22:23], v[126:127]              // 000000007278: D3B1407E 1802FD16
	v_cmp_u_f32_e64 s[70:71], v96, v96                         // 000000007280: D0480046 0002C160
	v_add3_u32 v40, v96, v43, 1                                // 000000007288: D1FF0028 02065760
	v_cndmask_b32_e64 v16, v40, v42, s[70:71]                  // 000000007290: D1000010 011A5528
	v_cmp_u_f32_e64 s[70:71], v97, v97                         // 000000007298: D0480046 0002C361
	v_add3_u32 v40, v97, v43, 1                                // 0000000072A0: D1FF0028 02065761
	v_cndmask_b32_e64 v17, v40, v42, s[70:71]                  // 0000000072A8: D1000011 011A5528
	v_perm_b32 v96, v17, v16, s49                              // 0000000072B0: D1ED0060 00C62111
	v_cmp_u_f32_e64 s[70:71], v98, v98                         // 0000000072B8: D0480046 0002C562
	v_add3_u32 v40, v98, v43, 1                                // 0000000072C0: D1FF0028 02065762
	v_cndmask_b32_e64 v16, v40, v42, s[70:71]                  // 0000000072C8: D1000010 011A5528
	v_cmp_u_f32_e64 s[70:71], v99, v99                         // 0000000072D0: D0480046 0002C763
	v_add3_u32 v40, v99, v43, 1                                // 0000000072D8: D1FF0028 02065763
	v_cndmask_b32_e64 v17, v40, v42, s[70:71]                  // 0000000072E0: D1000011 011A5528
	v_perm_b32 v97, v17, v16, s49                              // 0000000072E8: D1ED0061 00C62111
	v_cmp_u_f32_e64 s[70:71], v100, v100                       // 0000000072F0: D0480046 0002C964
	v_add3_u32 v40, v100, v43, 1                               // 0000000072F8: D1FF0028 02065764
	v_cndmask_b32_e64 v16, v40, v42, s[70:71]                  // 000000007300: D1000010 011A5528
	v_cmp_u_f32_e64 s[70:71], v101, v101                       // 000000007308: D0480046 0002CB65
	v_add3_u32 v40, v101, v43, 1                               // 000000007310: D1FF0028 02065765
	v_cndmask_b32_e64 v17, v40, v42, s[70:71]                  // 000000007318: D1000011 011A5528
	v_perm_b32 v98, v17, v16, s49                              // 000000007320: D1ED0062 00C62111
	v_cmp_u_f32_e64 s[70:71], v102, v102                       // 000000007328: D0480046 0002CD66
	v_add3_u32 v40, v102, v43, 1                               // 000000007330: D1FF0028 02065766
	v_cndmask_b32_e64 v16, v40, v42, s[70:71]                  // 000000007338: D1000010 011A5528
	v_cmp_u_f32_e64 s[70:71], v103, v103                       // 000000007340: D0480046 0002CF67
	v_add3_u32 v40, v103, v43, 1                               // 000000007348: D1FF0028 02065767
	v_cndmask_b32_e64 v17, v40, v42, s[70:71]                  // 000000007350: D1000011 011A5528
	v_perm_b32 v99, v17, v16, s49                              // 000000007358: D1ED0063 00C62111
	v_cmp_u_f32_e64 s[70:71], v104, v104                       // 000000007360: D0480046 0002D168
	v_add3_u32 v40, v104, v43, 1                               // 000000007368: D1FF0028 02065768
	v_cndmask_b32_e64 v16, v40, v42, s[70:71]                  // 000000007370: D1000010 011A5528
	v_cmp_u_f32_e64 s[70:71], v105, v105                       // 000000007378: D0480046 0002D369
	v_add3_u32 v40, v105, v43, 1                               // 000000007380: D1FF0028 02065769
	v_cndmask_b32_e64 v17, v40, v42, s[70:71]                  // 000000007388: D1000011 011A5528
	v_perm_b32 v100, v17, v16, s49                             // 000000007390: D1ED0064 00C62111
	v_cmp_u_f32_e64 s[70:71], v106, v106                       // 000000007398: D0480046 0002D56A
	v_add3_u32 v40, v106, v43, 1                               // 0000000073A0: D1FF0028 0206576A
	v_cndmask_b32_e64 v16, v40, v42, s[70:71]                  // 0000000073A8: D1000010 011A5528
	v_cmp_u_f32_e64 s[70:71], v107, v107                       // 0000000073B0: D0480046 0002D76B
	v_add3_u32 v40, v107, v43, 1                               // 0000000073B8: D1FF0028 0206576B
	v_cndmask_b32_e64 v17, v40, v42, s[70:71]                  // 0000000073C0: D1000011 011A5528
	v_perm_b32 v101, v17, v16, s49                             // 0000000073C8: D1ED0065 00C62111
	v_cmp_u_f32_e64 s[70:71], v108, v108                       // 0000000073D0: D0480046 0002D96C
	v_add3_u32 v40, v108, v43, 1                               // 0000000073D8: D1FF0028 0206576C
	v_cndmask_b32_e64 v16, v40, v42, s[70:71]                  // 0000000073E0: D1000010 011A5528
	v_cmp_u_f32_e64 s[70:71], v109, v109                       // 0000000073E8: D0480046 0002DB6D
	v_add3_u32 v40, v109, v43, 1                               // 0000000073F0: D1FF0028 0206576D
	v_cndmask_b32_e64 v17, v40, v42, s[70:71]                  // 0000000073F8: D1000011 011A5528
	v_perm_b32 v102, v17, v16, s49                             // 000000007400: D1ED0066 00C62111
	v_cmp_u_f32_e64 s[70:71], v110, v110                       // 000000007408: D0480046 0002DD6E
	v_add3_u32 v40, v110, v43, 1                               // 000000007410: D1FF0028 0206576E
	v_cndmask_b32_e64 v16, v40, v42, s[70:71]                  // 000000007418: D1000010 011A5528
	v_cmp_u_f32_e64 s[70:71], v111, v111                       // 000000007420: D0480046 0002DF6F
	v_add3_u32 v40, v111, v43, 1                               // 000000007428: D1FF0028 0206576F
	v_cndmask_b32_e64 v17, v40, v42, s[70:71]                  // 000000007430: D1000011 011A5528
	v_perm_b32 v103, v17, v16, s49                             // 000000007438: D1ED0067 00C62111
	v_cmp_u_f32_e64 s[70:71], v112, v112                       // 000000007440: D0480046 0002E170
	v_add3_u32 v40, v112, v43, 1                               // 000000007448: D1FF0028 02065770
	v_cndmask_b32_e64 v16, v40, v42, s[70:71]                  // 000000007450: D1000010 011A5528
	v_cmp_u_f32_e64 s[70:71], v113, v113                       // 000000007458: D0480046 0002E371
	v_add3_u32 v40, v113, v43, 1                               // 000000007460: D1FF0028 02065771
	v_cndmask_b32_e64 v17, v40, v42, s[70:71]                  // 000000007468: D1000011 011A5528
	v_perm_b32 v104, v17, v16, s49                             // 000000007470: D1ED0068 00C62111
	v_cmp_u_f32_e64 s[70:71], v114, v114                       // 000000007478: D0480046 0002E572
	v_add3_u32 v40, v114, v43, 1                               // 000000007480: D1FF0028 02065772
	v_cndmask_b32_e64 v16, v40, v42, s[70:71]                  // 000000007488: D1000010 011A5528
	v_cmp_u_f32_e64 s[70:71], v115, v115                       // 000000007490: D0480046 0002E773
	v_add3_u32 v40, v115, v43, 1                               // 000000007498: D1FF0028 02065773
	v_cndmask_b32_e64 v17, v40, v42, s[70:71]                  // 0000000074A0: D1000011 011A5528
	v_perm_b32 v105, v17, v16, s49                             // 0000000074A8: D1ED0069 00C62111
	v_cmp_u_f32_e64 s[70:71], v116, v116                       // 0000000074B0: D0480046 0002E974
	v_add3_u32 v40, v116, v43, 1                               // 0000000074B8: D1FF0028 02065774
	v_cndmask_b32_e64 v16, v40, v42, s[70:71]                  // 0000000074C0: D1000010 011A5528
	v_cmp_u_f32_e64 s[70:71], v117, v117                       // 0000000074C8: D0480046 0002EB75
	v_add3_u32 v40, v117, v43, 1                               // 0000000074D0: D1FF0028 02065775
	v_cndmask_b32_e64 v17, v40, v42, s[70:71]                  // 0000000074D8: D1000011 011A5528
	v_perm_b32 v106, v17, v16, s49                             // 0000000074E0: D1ED006A 00C62111
	v_cmp_u_f32_e64 s[70:71], v118, v118                       // 0000000074E8: D0480046 0002ED76
	v_add3_u32 v40, v118, v43, 1                               // 0000000074F0: D1FF0028 02065776
	v_cndmask_b32_e64 v16, v40, v42, s[70:71]                  // 0000000074F8: D1000010 011A5528
	v_cmp_u_f32_e64 s[70:71], v119, v119                       // 000000007500: D0480046 0002EF77
	v_add3_u32 v40, v119, v43, 1                               // 000000007508: D1FF0028 02065777
	v_cndmask_b32_e64 v17, v40, v42, s[70:71]                  // 000000007510: D1000011 011A5528
	v_perm_b32 v107, v17, v16, s49                             // 000000007518: D1ED006B 00C62111
	v_cmp_u_f32_e64 s[70:71], v120, v120                       // 000000007520: D0480046 0002F178
	v_add3_u32 v40, v120, v43, 1                               // 000000007528: D1FF0028 02065778
	v_cndmask_b32_e64 v16, v40, v42, s[70:71]                  // 000000007530: D1000010 011A5528
	v_cmp_u_f32_e64 s[70:71], v121, v121                       // 000000007538: D0480046 0002F379
	v_add3_u32 v40, v121, v43, 1                               // 000000007540: D1FF0028 02065779
	v_cndmask_b32_e64 v17, v40, v42, s[70:71]                  // 000000007548: D1000011 011A5528
	v_perm_b32 v108, v17, v16, s49                             // 000000007550: D1ED006C 00C62111
	v_cmp_u_f32_e64 s[70:71], v122, v122                       // 000000007558: D0480046 0002F57A
	v_add3_u32 v40, v122, v43, 1                               // 000000007560: D1FF0028 0206577A
	v_cndmask_b32_e64 v16, v40, v42, s[70:71]                  // 000000007568: D1000010 011A5528
	v_cmp_u_f32_e64 s[70:71], v123, v123                       // 000000007570: D0480046 0002F77B
	v_add3_u32 v40, v123, v43, 1                               // 000000007578: D1FF0028 0206577B
	v_cndmask_b32_e64 v17, v40, v42, s[70:71]                  // 000000007580: D1000011 011A5528
	v_perm_b32 v109, v17, v16, s49                             // 000000007588: D1ED006D 00C62111
	v_cmp_u_f32_e64 s[70:71], v124, v124                       // 000000007590: D0480046 0002F97C
	v_add3_u32 v40, v124, v43, 1                               // 000000007598: D1FF0028 0206577C
	v_cndmask_b32_e64 v16, v40, v42, s[70:71]                  // 0000000075A0: D1000010 011A5528
	v_cmp_u_f32_e64 s[70:71], v125, v125                       // 0000000075A8: D0480046 0002FB7D
	v_add3_u32 v40, v125, v43, 1                               // 0000000075B0: D1FF0028 0206577D
	v_cndmask_b32_e64 v17, v40, v42, s[70:71]                  // 0000000075B8: D1000011 011A5528
	v_perm_b32 v110, v17, v16, s49                             // 0000000075C0: D1ED006E 00C62111
	v_cmp_u_f32_e64 s[70:71], v126, v126                       // 0000000075C8: D0480046 0002FD7E
	v_add3_u32 v40, v126, v43, 1                               // 0000000075D0: D1FF0028 0206577E
	v_cndmask_b32_e64 v16, v40, v42, s[70:71]                  // 0000000075D8: D1000010 011A5528
	v_cmp_u_f32_e64 s[70:71], v127, v127                       // 0000000075E0: D0480046 0002FF7F
	v_add3_u32 v40, v127, v43, 1                               // 0000000075E8: D1FF0028 0206577F
	v_cndmask_b32_e64 v17, v40, v42, s[70:71]                  // 0000000075F0: D1000011 011A5528
	v_perm_b32 v111, v17, v16, s49                             // 0000000075F8: D1ED006F 00C62111
	ds_write_b64 v35, v[96:97]                                 // 000000007600: D89A0000 00006023
	ds_write_b64 v35, v[98:99] offset:528                      // 000000007608: D89A0210 00006223
	ds_write_b64 v35, v[100:101] offset:1056                   // 000000007610: D89A0420 00006423
	ds_write_b64 v35, v[102:103] offset:1584                   // 000000007618: D89A0630 00006623
	ds_write_b64 v35, v[104:105] offset:2112                   // 000000007620: D89A0840 00006823
	ds_write_b64 v35, v[106:107] offset:2640                   // 000000007628: D89A0A50 00006A23
	ds_write_b64 v35, v[108:109] offset:3168                   // 000000007630: D89A0C60 00006C23
	ds_write_b64 v35, v[110:111] offset:3696                   // 000000007638: D89A0E70 00006E23
	s_waitcnt vmcnt(0) expcnt(0) lgkmcnt(0)                    // 000000007640: BF8C0000
	ds_read_b64 v[96:97], v34                                  // 000000007644: D8EC0000 60000022
	ds_read_b64 v[98:99], v34 offset:264                       // 00000000764C: D8EC0108 62000022
	ds_read_b64 v[100:101], v34 offset:64                      // 000000007654: D8EC0040 64000022
	ds_read_b64 v[102:103], v34 offset:328                     // 00000000765C: D8EC0148 66000022
	ds_read_b64 v[104:105], v34 offset:128                     // 000000007664: D8EC0080 68000022
	ds_read_b64 v[106:107], v34 offset:392                     // 00000000766C: D8EC0188 6A000022
	ds_read_b64 v[108:109], v34 offset:192                     // 000000007674: D8EC00C0 6C000022
	ds_read_b64 v[110:111], v34 offset:456                     // 00000000767C: D8EC01C8 6E000022
	s_waitcnt vmcnt(0) expcnt(0) lgkmcnt(0)                    // 000000007684: BF8C0000
	buffer_store_dwordx4 v[96:99], v8, s[20:23], 0 offen       // 000000007688: E07C1000 80056008
	buffer_store_dwordx4 v[100:103], v9, s[20:23], 0 offen     // 000000007690: E07C1000 80056409
	buffer_store_dwordx4 v[104:107], v10, s[20:23], 0 offen    // 000000007698: E07C1000 8005680A
	buffer_store_dwordx4 v[108:111], v11, s[20:23], 0 offen    // 0000000076A0: E07C1000 80056C0B
	v_pk_mul_f32 v[128:129], v[22:23], v[128:129]              // 0000000076A8: D3B14080 18030116
	v_pk_mul_f32 v[130:131], v[22:23], v[130:131]              // 0000000076B0: D3B14082 18030516
	v_pk_mul_f32 v[132:133], v[22:23], v[132:133]              // 0000000076B8: D3B14084 18030916
	v_pk_mul_f32 v[134:135], v[22:23], v[134:135]              // 0000000076C0: D3B14086 18030D16
	v_pk_mul_f32 v[136:137], v[22:23], v[136:137]              // 0000000076C8: D3B14088 18031116
	v_pk_mul_f32 v[138:139], v[22:23], v[138:139]              // 0000000076D0: D3B1408A 18031516
	v_pk_mul_f32 v[140:141], v[22:23], v[140:141]              // 0000000076D8: D3B1408C 18031916
	v_pk_mul_f32 v[142:143], v[22:23], v[142:143]              // 0000000076E0: D3B1408E 18031D16
	v_pk_mul_f32 v[144:145], v[22:23], v[144:145]              // 0000000076E8: D3B14090 18032116
	v_pk_mul_f32 v[146:147], v[22:23], v[146:147]              // 0000000076F0: D3B14092 18032516
	v_pk_mul_f32 v[148:149], v[22:23], v[148:149]              // 0000000076F8: D3B14094 18032916
	v_pk_mul_f32 v[150:151], v[22:23], v[150:151]              // 000000007700: D3B14096 18032D16
	v_pk_mul_f32 v[152:153], v[22:23], v[152:153]              // 000000007708: D3B14098 18033116
	v_pk_mul_f32 v[154:155], v[22:23], v[154:155]              // 000000007710: D3B1409A 18033516
	v_pk_mul_f32 v[156:157], v[22:23], v[156:157]              // 000000007718: D3B1409C 18033916
	v_pk_mul_f32 v[158:159], v[22:23], v[158:159]              // 000000007720: D3B1409E 18033D16
	v_cmp_u_f32_e64 s[70:71], v128, v128                       // 000000007728: D0480046 00030180
	v_add3_u32 v40, v128, v43, 1                               // 000000007730: D1FF0028 02065780
	v_cndmask_b32_e64 v16, v40, v42, s[70:71]                  // 000000007738: D1000010 011A5528
	v_cmp_u_f32_e64 s[70:71], v129, v129                       // 000000007740: D0480046 00030381
	v_add3_u32 v40, v129, v43, 1                               // 000000007748: D1FF0028 02065781
	v_cndmask_b32_e64 v17, v40, v42, s[70:71]                  // 000000007750: D1000011 011A5528
	v_perm_b32 v128, v17, v16, s49                             // 000000007758: D1ED0080 00C62111
	v_cmp_u_f32_e64 s[70:71], v130, v130                       // 000000007760: D0480046 00030582
	v_add3_u32 v40, v130, v43, 1                               // 000000007768: D1FF0028 02065782
	v_cndmask_b32_e64 v16, v40, v42, s[70:71]                  // 000000007770: D1000010 011A5528
	v_cmp_u_f32_e64 s[70:71], v131, v131                       // 000000007778: D0480046 00030783
	v_add3_u32 v40, v131, v43, 1                               // 000000007780: D1FF0028 02065783
	v_cndmask_b32_e64 v17, v40, v42, s[70:71]                  // 000000007788: D1000011 011A5528
	v_perm_b32 v129, v17, v16, s49                             // 000000007790: D1ED0081 00C62111
	v_cmp_u_f32_e64 s[70:71], v132, v132                       // 000000007798: D0480046 00030984
	v_add3_u32 v40, v132, v43, 1                               // 0000000077A0: D1FF0028 02065784
	v_cndmask_b32_e64 v16, v40, v42, s[70:71]                  // 0000000077A8: D1000010 011A5528
	v_cmp_u_f32_e64 s[70:71], v133, v133                       // 0000000077B0: D0480046 00030B85
	v_add3_u32 v40, v133, v43, 1                               // 0000000077B8: D1FF0028 02065785
	v_cndmask_b32_e64 v17, v40, v42, s[70:71]                  // 0000000077C0: D1000011 011A5528
	v_perm_b32 v130, v17, v16, s49                             // 0000000077C8: D1ED0082 00C62111
	v_cmp_u_f32_e64 s[70:71], v134, v134                       // 0000000077D0: D0480046 00030D86
	v_add3_u32 v40, v134, v43, 1                               // 0000000077D8: D1FF0028 02065786
	v_cndmask_b32_e64 v16, v40, v42, s[70:71]                  // 0000000077E0: D1000010 011A5528
	v_cmp_u_f32_e64 s[70:71], v135, v135                       // 0000000077E8: D0480046 00030F87
	v_add3_u32 v40, v135, v43, 1                               // 0000000077F0: D1FF0028 02065787
	v_cndmask_b32_e64 v17, v40, v42, s[70:71]                  // 0000000077F8: D1000011 011A5528
	v_perm_b32 v131, v17, v16, s49                             // 000000007800: D1ED0083 00C62111
	v_cmp_u_f32_e64 s[70:71], v136, v136                       // 000000007808: D0480046 00031188
	v_add3_u32 v40, v136, v43, 1                               // 000000007810: D1FF0028 02065788
	v_cndmask_b32_e64 v16, v40, v42, s[70:71]                  // 000000007818: D1000010 011A5528
	v_cmp_u_f32_e64 s[70:71], v137, v137                       // 000000007820: D0480046 00031389
	v_add3_u32 v40, v137, v43, 1                               // 000000007828: D1FF0028 02065789
	v_cndmask_b32_e64 v17, v40, v42, s[70:71]                  // 000000007830: D1000011 011A5528
	v_perm_b32 v132, v17, v16, s49                             // 000000007838: D1ED0084 00C62111
	v_cmp_u_f32_e64 s[70:71], v138, v138                       // 000000007840: D0480046 0003158A
	v_add3_u32 v40, v138, v43, 1                               // 000000007848: D1FF0028 0206578A
	v_cndmask_b32_e64 v16, v40, v42, s[70:71]                  // 000000007850: D1000010 011A5528
	v_cmp_u_f32_e64 s[70:71], v139, v139                       // 000000007858: D0480046 0003178B
	v_add3_u32 v40, v139, v43, 1                               // 000000007860: D1FF0028 0206578B
	v_cndmask_b32_e64 v17, v40, v42, s[70:71]                  // 000000007868: D1000011 011A5528
	v_perm_b32 v133, v17, v16, s49                             // 000000007870: D1ED0085 00C62111
	v_cmp_u_f32_e64 s[70:71], v140, v140                       // 000000007878: D0480046 0003198C
	v_add3_u32 v40, v140, v43, 1                               // 000000007880: D1FF0028 0206578C
	v_cndmask_b32_e64 v16, v40, v42, s[70:71]                  // 000000007888: D1000010 011A5528
	v_cmp_u_f32_e64 s[70:71], v141, v141                       // 000000007890: D0480046 00031B8D
	v_add3_u32 v40, v141, v43, 1                               // 000000007898: D1FF0028 0206578D
	v_cndmask_b32_e64 v17, v40, v42, s[70:71]                  // 0000000078A0: D1000011 011A5528
	v_perm_b32 v134, v17, v16, s49                             // 0000000078A8: D1ED0086 00C62111
	v_cmp_u_f32_e64 s[70:71], v142, v142                       // 0000000078B0: D0480046 00031D8E
	v_add3_u32 v40, v142, v43, 1                               // 0000000078B8: D1FF0028 0206578E
	v_cndmask_b32_e64 v16, v40, v42, s[70:71]                  // 0000000078C0: D1000010 011A5528
	v_cmp_u_f32_e64 s[70:71], v143, v143                       // 0000000078C8: D0480046 00031F8F
	v_add3_u32 v40, v143, v43, 1                               // 0000000078D0: D1FF0028 0206578F
	v_cndmask_b32_e64 v17, v40, v42, s[70:71]                  // 0000000078D8: D1000011 011A5528
	v_perm_b32 v135, v17, v16, s49                             // 0000000078E0: D1ED0087 00C62111
	v_cmp_u_f32_e64 s[70:71], v144, v144                       // 0000000078E8: D0480046 00032190
	v_add3_u32 v40, v144, v43, 1                               // 0000000078F0: D1FF0028 02065790
	v_cndmask_b32_e64 v16, v40, v42, s[70:71]                  // 0000000078F8: D1000010 011A5528
	v_cmp_u_f32_e64 s[70:71], v145, v145                       // 000000007900: D0480046 00032391
	v_add3_u32 v40, v145, v43, 1                               // 000000007908: D1FF0028 02065791
	v_cndmask_b32_e64 v17, v40, v42, s[70:71]                  // 000000007910: D1000011 011A5528
	v_perm_b32 v136, v17, v16, s49                             // 000000007918: D1ED0088 00C62111
	v_cmp_u_f32_e64 s[70:71], v146, v146                       // 000000007920: D0480046 00032592
	v_add3_u32 v40, v146, v43, 1                               // 000000007928: D1FF0028 02065792
	v_cndmask_b32_e64 v16, v40, v42, s[70:71]                  // 000000007930: D1000010 011A5528
	v_cmp_u_f32_e64 s[70:71], v147, v147                       // 000000007938: D0480046 00032793
	v_add3_u32 v40, v147, v43, 1                               // 000000007940: D1FF0028 02065793
	v_cndmask_b32_e64 v17, v40, v42, s[70:71]                  // 000000007948: D1000011 011A5528
	v_perm_b32 v137, v17, v16, s49                             // 000000007950: D1ED0089 00C62111
	v_cmp_u_f32_e64 s[70:71], v148, v148                       // 000000007958: D0480046 00032994
	v_add3_u32 v40, v148, v43, 1                               // 000000007960: D1FF0028 02065794
	v_cndmask_b32_e64 v16, v40, v42, s[70:71]                  // 000000007968: D1000010 011A5528
	v_cmp_u_f32_e64 s[70:71], v149, v149                       // 000000007970: D0480046 00032B95
	v_add3_u32 v40, v149, v43, 1                               // 000000007978: D1FF0028 02065795
	v_cndmask_b32_e64 v17, v40, v42, s[70:71]                  // 000000007980: D1000011 011A5528
	v_perm_b32 v138, v17, v16, s49                             // 000000007988: D1ED008A 00C62111
	v_cmp_u_f32_e64 s[70:71], v150, v150                       // 000000007990: D0480046 00032D96
	v_add3_u32 v40, v150, v43, 1                               // 000000007998: D1FF0028 02065796
	v_cndmask_b32_e64 v16, v40, v42, s[70:71]                  // 0000000079A0: D1000010 011A5528
	v_cmp_u_f32_e64 s[70:71], v151, v151                       // 0000000079A8: D0480046 00032F97
	v_add3_u32 v40, v151, v43, 1                               // 0000000079B0: D1FF0028 02065797
	v_cndmask_b32_e64 v17, v40, v42, s[70:71]                  // 0000000079B8: D1000011 011A5528
	v_perm_b32 v139, v17, v16, s49                             // 0000000079C0: D1ED008B 00C62111
	v_cmp_u_f32_e64 s[70:71], v152, v152                       // 0000000079C8: D0480046 00033198
	v_add3_u32 v40, v152, v43, 1                               // 0000000079D0: D1FF0028 02065798
	v_cndmask_b32_e64 v16, v40, v42, s[70:71]                  // 0000000079D8: D1000010 011A5528
	v_cmp_u_f32_e64 s[70:71], v153, v153                       // 0000000079E0: D0480046 00033399
	v_add3_u32 v40, v153, v43, 1                               // 0000000079E8: D1FF0028 02065799
	v_cndmask_b32_e64 v17, v40, v42, s[70:71]                  // 0000000079F0: D1000011 011A5528
	v_perm_b32 v140, v17, v16, s49                             // 0000000079F8: D1ED008C 00C62111
	v_cmp_u_f32_e64 s[70:71], v154, v154                       // 000000007A00: D0480046 0003359A
	v_add3_u32 v40, v154, v43, 1                               // 000000007A08: D1FF0028 0206579A
	v_cndmask_b32_e64 v16, v40, v42, s[70:71]                  // 000000007A10: D1000010 011A5528
	v_cmp_u_f32_e64 s[70:71], v155, v155                       // 000000007A18: D0480046 0003379B
	v_add3_u32 v40, v155, v43, 1                               // 000000007A20: D1FF0028 0206579B
	v_cndmask_b32_e64 v17, v40, v42, s[70:71]                  // 000000007A28: D1000011 011A5528
	v_perm_b32 v141, v17, v16, s49                             // 000000007A30: D1ED008D 00C62111
	v_cmp_u_f32_e64 s[70:71], v156, v156                       // 000000007A38: D0480046 0003399C
	v_add3_u32 v40, v156, v43, 1                               // 000000007A40: D1FF0028 0206579C
	v_cndmask_b32_e64 v16, v40, v42, s[70:71]                  // 000000007A48: D1000010 011A5528
	v_cmp_u_f32_e64 s[70:71], v157, v157                       // 000000007A50: D0480046 00033B9D
	v_add3_u32 v40, v157, v43, 1                               // 000000007A58: D1FF0028 0206579D
	v_cndmask_b32_e64 v17, v40, v42, s[70:71]                  // 000000007A60: D1000011 011A5528
	v_perm_b32 v142, v17, v16, s49                             // 000000007A68: D1ED008E 00C62111
	v_cmp_u_f32_e64 s[70:71], v158, v158                       // 000000007A70: D0480046 00033D9E
	v_add3_u32 v40, v158, v43, 1                               // 000000007A78: D1FF0028 0206579E
	v_cndmask_b32_e64 v16, v40, v42, s[70:71]                  // 000000007A80: D1000010 011A5528
	v_cmp_u_f32_e64 s[70:71], v159, v159                       // 000000007A88: D0480046 00033F9F
	v_add3_u32 v40, v159, v43, 1                               // 000000007A90: D1FF0028 0206579F
	v_cndmask_b32_e64 v17, v40, v42, s[70:71]                  // 000000007A98: D1000011 011A5528
	v_perm_b32 v143, v17, v16, s49                             // 000000007AA0: D1ED008F 00C62111
	ds_write_b64 v35, v[128:129]                               // 000000007AA8: D89A0000 00008023
	ds_write_b64 v35, v[130:131] offset:528                    // 000000007AB0: D89A0210 00008223
	ds_write_b64 v35, v[132:133] offset:1056                   // 000000007AB8: D89A0420 00008423
	ds_write_b64 v35, v[134:135] offset:1584                   // 000000007AC0: D89A0630 00008623
	ds_write_b64 v35, v[136:137] offset:2112                   // 000000007AC8: D89A0840 00008823
	ds_write_b64 v35, v[138:139] offset:2640                   // 000000007AD0: D89A0A50 00008A23
	ds_write_b64 v35, v[140:141] offset:3168                   // 000000007AD8: D89A0C60 00008C23
	ds_write_b64 v35, v[142:143] offset:3696                   // 000000007AE0: D89A0E70 00008E23
	s_waitcnt vmcnt(0) expcnt(0) lgkmcnt(0)                    // 000000007AE8: BF8C0000
	ds_read_b64 v[128:129], v34                                // 000000007AEC: D8EC0000 80000022
	ds_read_b64 v[130:131], v34 offset:264                     // 000000007AF4: D8EC0108 82000022
	ds_read_b64 v[132:133], v34 offset:64                      // 000000007AFC: D8EC0040 84000022
	ds_read_b64 v[134:135], v34 offset:328                     // 000000007B04: D8EC0148 86000022
	ds_read_b64 v[136:137], v34 offset:128                     // 000000007B0C: D8EC0080 88000022
	ds_read_b64 v[138:139], v34 offset:392                     // 000000007B14: D8EC0188 8A000022
	ds_read_b64 v[140:141], v34 offset:192                     // 000000007B1C: D8EC00C0 8C000022
	ds_read_b64 v[142:143], v34 offset:456                     // 000000007B24: D8EC01C8 8E000022
	s_waitcnt vmcnt(0) expcnt(0) lgkmcnt(0)                    // 000000007B2C: BF8C0000
	buffer_store_dwordx4 v[128:131], v8, s[20:23], 0 offen offset:128// 000000007B30: E07C1080 80058008
	buffer_store_dwordx4 v[132:135], v9, s[20:23], 0 offen offset:128// 000000007B38: E07C1080 80058409
	buffer_store_dwordx4 v[136:139], v10, s[20:23], 0 offen offset:128// 000000007B40: E07C1080 8005880A
	buffer_store_dwordx4 v[140:143], v11, s[20:23], 0 offen offset:128// 000000007B48: E07C1080 80058C0B
	s_cmp_eq_u32 s37, 0                                        // 000000007B50: BF068025
	s_cbranch_scc1 label_121C                                  // 000000007B54: BF850006
	v_cmp_ge_f32_e64 s[40:41], v2, v31                         // 000000007B58: D0460028 00023F02
	v_cndmask_b32_e64 v2, v31, v2, s[40:41]                    // 000000007B60: D1000002 00A2051F
	buffer_store_dword v2, v3, s[24:27], 0 offen               // 000000007B68: E0701000 80060203

0000000000007b70 <label_121C>:
	s_waitcnt vmcnt(0) expcnt(0) lgkmcnt(0)                    // 000000007B70: BF8C0000
	s_barrier                                                  // 000000007B74: BF8A0000
	s_addk_i32 s36, 0x1                                        // 000000007B78: B7240001
	s_add_u32 s40, s30, 0xff                                   // 000000007B7C: 8028FF1E 000000FF
	s_lshr_b32 s40, s40, 8                                     // 000000007B84: 8F288828
	s_cmp_lt_u32 s40, 2                                        // 000000007B88: BF0A8228
	s_cselect_b32 s36, 2, s36                                  // 000000007B8C: 85242482
	s_add_u32 s41, s30, 0xff                                   // 000000007B90: 8029FF1E 000000FF
	s_lshr_b32 s40, s41, 8                                     // 000000007B98: 8F288829
	s_sub_u32 s40, s40, 1                                      // 000000007B9C: 80A88128
	s_sub_u32 s2, s40, s2                                      // 000000007BA0: 80820228
	s_mul_i32 s43, 32, s61                                     // 000000007BA4: 922B3DA0
	s_mul_i32 s44, 32, s80                                     // 000000007BA8: 922C50A0
	s_and_b32 s42, 1, s34                                      // 000000007BAC: 862A2281
	s_cmp_lt_i32 s42, 1                                        // 000000007BB0: BF04812A
	s_cbranch_scc1 label_1241                                  // 000000007BB4: BF850013
	s_lshl_b32 s40, s2, 3                                      // 000000007BB8: 8E288302
	s_add_u32 s40, s40, 7                                      // 000000007BBC: 80288728
	s_sub_i32 s41, s7, s30                                     // 000000007BC0: 81A91E07
	s_addk_i32 s41, 0x1f                                       // 000000007BC4: B729001F
	s_ashr_i32 s41, s41, 5                                     // 000000007BC8: 90298529
	s_add_i32 s40, s40, s41                                    // 000000007BCC: 81282928
	s_sub_u32 s41, s7, 1                                       // 000000007BD0: 80A98107
	s_lshr_b32 s41, s41, 5                                     // 000000007BD4: 8F298529
	s_cmp_lt_i32 s40, s41                                      // 000000007BD8: BF042928
	s_cselect_b32 s40, s40, s41                                // 000000007BDC: 85282928
	s_cmp_lt_i32 s40, 0                                        // 000000007BE0: BF048028
	s_cselect_b32 s40, 0, s40                                  // 000000007BE4: 85282880
	s_mul_i32 s60, s40, s43                                    // 000000007BE8: 923C2B28
	s_mul_i32 s35, s40, s44                                    // 000000007BEC: 92232C28
	s_mul_i32 s52, s40, 32                                     // 000000007BF0: 9234A028
	s_sub_i32 s44, 0, s44                                      // 000000007BF4: 81AC2C80
	s_sub_i32 s43, 0, s43                                      // 000000007BF8: 81AB2B80
	s_sub_i32 s53, 0, s53                                      // 000000007BFC: 81B53580
	s_branch label_1245                                        // 000000007C00: BF820004

0000000000007c04 <label_1241>:
	s_mov_b32 s60, 0                                           // 000000007C04: BEBC0080
	s_mov_b32 s35, 0                                           // 000000007C08: BEA30080
	s_mov_b32 s52, 0                                           // 000000007C0C: BEB40080
	s_mov_b32 s53, 32                                          // 000000007C10: BEB500A0

0000000000007c14 <label_1245>:
	s_cmp_lt_i32 s36, 2                                        // 000000007C14: BF048224
	s_cbranch_scc1 label_00F6                                  // 000000007C18: BF85EEAF
	s_waitcnt vmcnt(0) expcnt(0) lgkmcnt(0)                    // 000000007C1C: BF8C0000
	s_endpgm                                                   // 000000007C20: BF810000
